;; amdgpu-corpus repo=ROCm/rocFFT kind=compiled arch=gfx906 opt=O3
	.text
	.amdgcn_target "amdgcn-amd-amdhsa--gfx906"
	.amdhsa_code_object_version 6
	.protected	bluestein_single_fwd_len945_dim1_half_op_CI_CI ; -- Begin function bluestein_single_fwd_len945_dim1_half_op_CI_CI
	.globl	bluestein_single_fwd_len945_dim1_half_op_CI_CI
	.p2align	8
	.type	bluestein_single_fwd_len945_dim1_half_op_CI_CI,@function
bluestein_single_fwd_len945_dim1_half_op_CI_CI: ; @bluestein_single_fwd_len945_dim1_half_op_CI_CI
; %bb.0:
	s_load_dwordx4 s[16:19], s[4:5], 0x28
	v_mul_u32_u24_e32 v1, 0x411, v0
	v_add_u32_sdwa v24, s6, v1 dst_sel:DWORD dst_unused:UNUSED_PAD src0_sel:DWORD src1_sel:WORD_1
	v_mov_b32_e32 v25, 0
	s_waitcnt lgkmcnt(0)
	v_cmp_gt_u64_e32 vcc, s[16:17], v[24:25]
	s_and_saveexec_b64 s[0:1], vcc
	s_cbranch_execz .LBB0_10
; %bb.1:
	s_load_dwordx4 s[8:11], s[4:5], 0x18
	s_load_dwordx4 s[12:15], s[4:5], 0x0
	v_mov_b32_e32 v2, 63
	v_mul_lo_u16_sdwa v1, v1, v2 dst_sel:DWORD dst_unused:UNUSED_PAD src0_sel:WORD_1 src1_sel:DWORD
	v_sub_u16_e32 v88, v0, v1
	s_waitcnt lgkmcnt(0)
	s_load_dwordx4 s[0:3], s[8:9], 0x0
	v_lshlrev_b32_e32 v73, 2, v88
	global_load_dword v89, v73, s[12:13]
                                        ; implicit-def: $vgpr112
                                        ; implicit-def: $vgpr110
                                        ; implicit-def: $vgpr109
                                        ; implicit-def: $vgpr111
                                        ; implicit-def: $vgpr113
                                        ; implicit-def: $vgpr114
                                        ; implicit-def: $vgpr115
	s_waitcnt lgkmcnt(0)
	v_mad_u64_u32 v[0:1], s[6:7], s2, v24, 0
	v_mad_u64_u32 v[2:3], s[6:7], s0, v88, 0
	s_mul_i32 s6, s0, 0x4ec
	s_mul_hi_u32 s7, s0, 0xfffff724
	v_mad_u64_u32 v[4:5], s[2:3], s3, v24, v[1:2]
	s_mul_i32 s16, s0, 0xfffff724
	v_mad_u64_u32 v[5:6], s[2:3], s1, v88, v[3:4]
	v_mov_b32_e32 v1, v4
	v_lshlrev_b64 v[0:1], 2, v[0:1]
	v_mov_b32_e32 v6, s19
	v_mov_b32_e32 v3, v5
	v_add_co_u32_e32 v4, vcc, s18, v0
	v_addc_co_u32_e32 v5, vcc, v6, v1, vcc
	v_lshlrev_b64 v[0:1], 2, v[2:3]
	s_mul_i32 s2, s1, 0x4ec
	v_add_co_u32_e32 v0, vcc, v4, v0
	s_mul_hi_u32 s3, s0, 0x4ec
	v_addc_co_u32_e32 v1, vcc, v5, v1, vcc
	s_add_i32 s3, s3, s2
	global_load_dword v4, v[0:1], off
	v_mov_b32_e32 v2, s3
	v_add_co_u32_e32 v0, vcc, s6, v0
	v_addc_co_u32_e32 v1, vcc, v1, v2, vcc
	global_load_dword v5, v[0:1], off
	global_load_dword v87, v73, s[12:13] offset:1260
	v_add_co_u32_e32 v0, vcc, s6, v0
	v_addc_co_u32_e32 v1, vcc, v1, v2, vcc
	global_load_dword v6, v[0:1], off
	s_mulk_i32 s1, 0xf724
	s_sub_i32 s0, s7, s0
	s_add_i32 s0, s0, s1
	v_mov_b32_e32 v2, s0
	v_add_co_u32_e32 v0, vcc, s16, v0
	v_addc_co_u32_e32 v1, vcc, v1, v2, vcc
	v_mov_b32_e32 v3, s3
	v_add_co_u32_e32 v2, vcc, s6, v0
	s_load_dwordx4 s[8:11], s[10:11], 0x0
	global_load_dword v86, v73, s[12:13] offset:2520
	global_load_dword v83, v73, s[12:13] offset:2772
	;; [unrolled: 1-line block ×8, first 2 shown]
	v_addc_co_u32_e32 v3, vcc, v1, v3, vcc
	global_load_dword v11, v[0:1], off
	global_load_dword v12, v[2:3], off
	v_mov_b32_e32 v7, s3
	v_add_co_u32_e32 v0, vcc, s6, v2
	v_addc_co_u32_e32 v1, vcc, v3, v7, vcc
	global_load_dword v2, v[0:1], off
	v_mov_b32_e32 v10, s0
	v_add_co_u32_e32 v0, vcc, s16, v0
	v_addc_co_u32_e32 v1, vcc, v1, v10, vcc
	;; [unrolled: 4-line block ×4, first 2 shown]
	v_mov_b32_e32 v17, s3
	s_mov_b32 s2, 0xffff
	s_movk_i32 s1, 0x7e
	s_waitcnt vmcnt(16)
	v_lshrrev_b32_e32 v8, 16, v4
	v_mul_f16_sdwa v10, v89, v4 dst_sel:DWORD dst_unused:UNUSED_PAD src0_sel:WORD_1 src1_sel:DWORD
	v_mul_f16_sdwa v13, v89, v8 dst_sel:DWORD dst_unused:UNUSED_PAD src0_sel:WORD_1 src1_sel:DWORD
	v_fma_f16 v8, v89, v8, -v10
	v_fma_f16 v4, v89, v4, v13
	s_waitcnt vmcnt(15)
	v_lshrrev_b32_e32 v10, 16, v5
	s_waitcnt vmcnt(14)
	v_mul_f16_sdwa v14, v87, v5 dst_sel:DWORD dst_unused:UNUSED_PAD src0_sel:WORD_1 src1_sel:DWORD
	v_mul_f16_sdwa v13, v87, v10 dst_sel:DWORD dst_unused:UNUSED_PAD src0_sel:WORD_1 src1_sel:DWORD
	v_fma_f16 v10, v87, v10, -v14
	v_fma_f16 v5, v87, v5, v13
	v_pack_b32_f16 v5, v5, v10
	ds_write_b32 v73, v5 offset:1260
	global_load_dword v5, v[0:1], off
	global_load_dword v81, v73, s[12:13] offset:3024
	v_pack_b32_f16 v4, v4, v8
	v_mov_b32_e32 v8, s0
	v_add_co_u32_e32 v0, vcc, s16, v0
	v_addc_co_u32_e32 v1, vcc, v1, v8, vcc
	global_load_dword v8, v[0:1], off
	v_add_co_u32_e32 v0, vcc, s6, v0
	v_addc_co_u32_e32 v1, vcc, v1, v9, vcc
	global_load_dword v9, v[0:1], off
	global_load_dword v78, v73, s[12:13] offset:2016
	v_mov_b32_e32 v10, s3
	v_add_co_u32_e32 v0, vcc, s6, v0
	v_addc_co_u32_e32 v1, vcc, v1, v10, vcc
	global_load_dword v13, v[0:1], off
	global_load_dword v77, v73, s[12:13] offset:3276
	v_mov_b32_e32 v10, s0
	v_add_co_u32_e32 v0, vcc, s16, v0
	v_addc_co_u32_e32 v1, vcc, v1, v10, vcc
	global_load_dword v15, v[0:1], off
	v_mov_b32_e32 v10, s3
	v_add_co_u32_e32 v0, vcc, s6, v0
	v_addc_co_u32_e32 v1, vcc, v1, v10, vcc
	global_load_dword v16, v[0:1], off
	global_load_dword v74, v73, s[12:13] offset:3528
	global_load_dword v75, v73, s[12:13] offset:2268
	v_add_co_u32_e32 v0, vcc, s6, v0
	v_addc_co_u32_e32 v1, vcc, v1, v17, vcc
	global_load_dword v0, v[0:1], off
	s_waitcnt vmcnt(25)
	v_lshrrev_b32_e32 v14, 16, v6
	s_waitcnt vmcnt(24)
	v_mul_f16_sdwa v10, v86, v14 dst_sel:DWORD dst_unused:UNUSED_PAD src0_sel:WORD_1 src1_sel:DWORD
	v_mul_f16_sdwa v1, v86, v6 dst_sel:DWORD dst_unused:UNUSED_PAD src0_sel:WORD_1 src1_sel:DWORD
	v_fma_f16 v10, v86, v6, v10
	v_fma_f16 v1, v86, v14, -v1
	v_pack_b32_f16 v1, v10, v1
	ds_write_b32 v73, v1 offset:2520
	s_waitcnt vmcnt(16)
	v_lshrrev_b32_e32 v1, 16, v11
	v_mul_f16_sdwa v6, v85, v1 dst_sel:DWORD dst_unused:UNUSED_PAD src0_sel:WORD_1 src1_sel:DWORD
	v_mul_f16_sdwa v10, v85, v11 dst_sel:DWORD dst_unused:UNUSED_PAD src0_sel:WORD_1 src1_sel:DWORD
	v_fma_f16 v6, v85, v11, v6
	v_fma_f16 v1, v85, v1, -v10
	v_pack_b32_f16 v1, v6, v1
	ds_write2_b32 v73, v4, v1 offset1:63
	s_waitcnt vmcnt(15)
	v_lshrrev_b32_e32 v1, 16, v12
	v_mul_f16_sdwa v4, v84, v1 dst_sel:DWORD dst_unused:UNUSED_PAD src0_sel:WORD_1 src1_sel:DWORD
	v_mul_f16_sdwa v6, v84, v12 dst_sel:DWORD dst_unused:UNUSED_PAD src0_sel:WORD_1 src1_sel:DWORD
	v_fma_f16 v4, v84, v12, v4
	v_fma_f16 v1, v84, v1, -v6
	v_pack_b32_f16 v1, v4, v1
	s_waitcnt vmcnt(14)
	v_lshrrev_b32_e32 v4, 16, v2
	v_mul_f16_sdwa v6, v83, v4 dst_sel:DWORD dst_unused:UNUSED_PAD src0_sel:WORD_1 src1_sel:DWORD
	v_fma_f16 v6, v83, v2, v6
	v_mul_f16_sdwa v2, v83, v2 dst_sel:DWORD dst_unused:UNUSED_PAD src0_sel:WORD_1 src1_sel:DWORD
	v_fma_f16 v2, v83, v4, -v2
	s_waitcnt vmcnt(13)
	v_lshrrev_b32_e32 v4, 16, v3
	v_pack_b32_f16 v2, v6, v2
	v_mul_f16_sdwa v6, v82, v4 dst_sel:DWORD dst_unused:UNUSED_PAD src0_sel:WORD_1 src1_sel:DWORD
	v_fma_f16 v6, v82, v3, v6
	v_mul_f16_sdwa v3, v82, v3 dst_sel:DWORD dst_unused:UNUSED_PAD src0_sel:WORD_1 src1_sel:DWORD
	v_fma_f16 v3, v82, v4, -v3
	s_waitcnt vmcnt(12)
	v_lshrrev_b32_e32 v4, 16, v7
	v_pack_b32_f16 v3, v6, v3
	v_mul_f16_sdwa v6, v80, v4 dst_sel:DWORD dst_unused:UNUSED_PAD src0_sel:WORD_1 src1_sel:DWORD
	v_fma_f16 v6, v80, v7, v6
	v_mul_f16_sdwa v7, v80, v7 dst_sel:DWORD dst_unused:UNUSED_PAD src0_sel:WORD_1 src1_sel:DWORD
	v_fma_f16 v4, v80, v4, -v7
	v_pack_b32_f16 v4, v6, v4
	v_add_u32_e32 v10, 0x400, v73
	ds_write2_b32 v10, v1, v4 offset0:122 offset1:185
	v_add_u32_e32 v11, 0x800, v73
	v_add_u32_e32 v12, 0x200, v73
	s_movk_i32 s0, 0x3aee
	s_waitcnt vmcnt(11)
	v_lshrrev_b32_e32 v1, 16, v5
	s_waitcnt vmcnt(10)
	v_mul_f16_sdwa v4, v81, v1 dst_sel:DWORD dst_unused:UNUSED_PAD src0_sel:WORD_1 src1_sel:DWORD
	v_fma_f16 v4, v81, v5, v4
	v_mul_f16_sdwa v5, v81, v5 dst_sel:DWORD dst_unused:UNUSED_PAD src0_sel:WORD_1 src1_sel:DWORD
	v_fma_f16 v1, v81, v1, -v5
	v_pack_b32_f16 v1, v4, v1
	ds_write2_b32 v11, v2, v1 offset0:181 offset1:244
	v_add_u32_e32 v17, 0xa00, v73
	s_waitcnt vmcnt(9)
	v_lshrrev_b32_e32 v1, 16, v8
	v_mul_f16_sdwa v2, v79, v1 dst_sel:DWORD dst_unused:UNUSED_PAD src0_sel:WORD_1 src1_sel:DWORD
	v_mul_f16_sdwa v4, v79, v8 dst_sel:DWORD dst_unused:UNUSED_PAD src0_sel:WORD_1 src1_sel:DWORD
	v_fma_f16 v2, v79, v8, v2
	v_fma_f16 v1, v79, v1, -v4
	v_pack_b32_f16 v1, v2, v1
	ds_write2_b32 v73, v3, v1 offset0:126 offset1:189
	s_waitcnt vmcnt(8)
	v_lshrrev_b32_e32 v1, 16, v9
	s_waitcnt vmcnt(7)
	v_mul_f16_sdwa v2, v78, v1 dst_sel:DWORD dst_unused:UNUSED_PAD src0_sel:WORD_1 src1_sel:DWORD
	v_mul_f16_sdwa v3, v78, v9 dst_sel:DWORD dst_unused:UNUSED_PAD src0_sel:WORD_1 src1_sel:DWORD
	v_fma_f16 v2, v78, v9, v2
	v_fma_f16 v1, v78, v1, -v3
	v_pack_b32_f16 v1, v2, v1
	s_waitcnt vmcnt(6)
	v_lshrrev_b32_e32 v2, 16, v13
	s_waitcnt vmcnt(5)
	v_mul_f16_sdwa v3, v77, v2 dst_sel:DWORD dst_unused:UNUSED_PAD src0_sel:WORD_1 src1_sel:DWORD
	v_mul_f16_sdwa v4, v77, v13 dst_sel:DWORD dst_unused:UNUSED_PAD src0_sel:WORD_1 src1_sel:DWORD
	v_fma_f16 v3, v77, v13, v3
	v_fma_f16 v2, v77, v2, -v4
	v_pack_b32_f16 v2, v3, v2
	s_waitcnt vmcnt(4)
	v_lshrrev_b32_e32 v3, 16, v15
	v_mul_f16_sdwa v4, v76, v3 dst_sel:DWORD dst_unused:UNUSED_PAD src0_sel:WORD_1 src1_sel:DWORD
	v_mul_f16_sdwa v5, v76, v15 dst_sel:DWORD dst_unused:UNUSED_PAD src0_sel:WORD_1 src1_sel:DWORD
	v_fma_f16 v4, v76, v15, v4
	v_fma_f16 v3, v76, v3, -v5
	v_pack_b32_f16 v3, v4, v3
	ds_write_b32 v73, v3 offset:1008
	s_waitcnt vmcnt(3)
	v_lshrrev_b32_e32 v3, 16, v16
	s_waitcnt vmcnt(1)
	v_mul_f16_sdwa v4, v75, v3 dst_sel:DWORD dst_unused:UNUSED_PAD src0_sel:WORD_1 src1_sel:DWORD
	v_mul_f16_sdwa v5, v75, v16 dst_sel:DWORD dst_unused:UNUSED_PAD src0_sel:WORD_1 src1_sel:DWORD
	v_fma_f16 v4, v75, v16, v4
	v_fma_f16 v3, v75, v3, -v5
	v_pack_b32_f16 v3, v4, v3
	v_add_u32_e32 v9, 0x600, v73
	ds_write2_b32 v9, v1, v3 offset0:120 offset1:183
	s_waitcnt vmcnt(0)
	v_lshrrev_b32_e32 v1, 16, v0
	v_mul_f16_sdwa v3, v74, v1 dst_sel:DWORD dst_unused:UNUSED_PAD src0_sel:WORD_1 src1_sel:DWORD
	v_fma_f16 v3, v74, v0, v3
	v_mul_f16_sdwa v0, v74, v0 dst_sel:DWORD dst_unused:UNUSED_PAD src0_sel:WORD_1 src1_sel:DWORD
	v_fma_f16 v0, v74, v1, -v0
	v_pack_b32_f16 v0, v3, v0
	v_add_u32_e32 v16, 0xc00, v73
	ds_write2_b32 v16, v2, v0 offset0:51 offset1:114
	v_mul_lo_u16_e32 v0, 3, v88
	s_waitcnt lgkmcnt(0)
	; wave barrier
	s_waitcnt lgkmcnt(0)
	v_lshlrev_b32_e32 v90, 2, v0
	ds_read2_b32 v[0:1], v73 offset1:63
	ds_read2_b32 v[2:3], v10 offset0:122 offset1:185
	ds_read2_b32 v[4:5], v11 offset0:118 offset1:181
	;; [unrolled: 1-line block ×6, first 2 shown]
	ds_read_b32 v15, v73 offset:3528
	s_waitcnt lgkmcnt(0)
	; wave barrier
	s_waitcnt lgkmcnt(0)
	v_pk_add_f16 v8, v14, v4
	v_pk_add_f16 v22, v14, v4 neg_lo:[0,1] neg_hi:[0,1]
	v_pk_fma_f16 v8, v8, 0.5, v0 op_sel_hi:[1,0,1] neg_lo:[1,0,0] neg_hi:[1,0,0]
	v_pk_mul_f16 v22, v22, s0 op_sel_hi:[1,0]
	v_pk_add_f16 v23, v8, v22 op_sel:[0,1] op_sel_hi:[1,0]
	v_pk_add_f16 v22, v8, v22 op_sel:[0,1] op_sel_hi:[1,0] neg_lo:[0,1] neg_hi:[0,1]
	v_pk_add_f16 v0, v0, v14
	v_pk_add_f16 v0, v0, v4
	v_bfi_b32 v4, s2, v23, v22
	ds_write2_b32 v90, v0, v4 offset1:1
	v_pk_add_f16 v0, v2, v5
	v_pk_fma_f16 v4, v0, 0.5, v1 op_sel_hi:[1,0,1] neg_lo:[1,0,0] neg_hi:[1,0,0]
	v_pk_add_f16 v1, v1, v2
	v_pk_add_f16 v14, v1, v5
	v_pk_add_f16 v1, v2, v5 neg_lo:[0,1] neg_hi:[0,1]
	v_pk_mul_f16 v1, v1, s0 op_sel_hi:[1,0]
	v_pk_add_f16 v2, v4, v1 op_sel:[0,1] op_sel_hi:[1,0]
	v_pk_add_f16 v1, v4, v1 op_sel:[0,1] op_sel_hi:[1,0] neg_lo:[0,1] neg_hi:[0,1]
	v_add_co_u32_e32 v0, vcc, 63, v88
	v_bfi_b32 v4, s2, v2, v1
	v_bfi_b32 v5, s2, v1, v2
	;; [unrolled: 1-line block ×3, first 2 shown]
	ds_write_b32 v90, v2 offset:8
	v_mul_u32_u24_e32 v2, 3, v0
	v_lshlrev_b32_e32 v91, 2, v2
	ds_write2_b32 v91, v14, v4 offset1:1
	v_pk_add_f16 v4, v6, v3
	v_pk_add_f16 v2, v3, v18
	v_pk_add_f16 v3, v3, v18 neg_lo:[0,1] neg_hi:[0,1]
	v_pk_fma_f16 v2, v2, 0.5, v6 op_sel_hi:[1,0,1] neg_lo:[1,0,0] neg_hi:[1,0,0]
	v_pk_mul_f16 v3, v3, s0 op_sel_hi:[1,0]
	v_pk_add_f16 v6, v2, v3 op_sel:[0,1] op_sel_hi:[1,0]
	v_pk_add_f16 v2, v2, v3 op_sel:[0,1] op_sel_hi:[1,0] neg_lo:[0,1] neg_hi:[0,1]
	v_bfi_b32 v3, s2, v6, v2
	v_bfi_b32 v6, s2, v2, v6
	v_pk_add_f16 v2, v20, v19
	v_pk_add_f16 v4, v4, v18
	v_pk_add_f16 v18, v20, v19 neg_lo:[0,1] neg_hi:[0,1]
	v_pk_fma_f16 v14, v2, 0.5, v7 op_sel_hi:[1,0,1] neg_lo:[1,0,0] neg_hi:[1,0,0]
	v_pk_add_f16 v7, v7, v20
	v_pk_mul_f16 v18, v18, s0 op_sel_hi:[1,0]
	v_add_co_u32_e32 v8, vcc, s1, v88
	s_movk_i32 s1, 0xbd
	v_pk_add_f16 v7, v7, v19
	v_pk_add_f16 v19, v14, v18 op_sel:[0,1] op_sel_hi:[1,0]
	v_pk_add_f16 v14, v14, v18 op_sel:[0,1] op_sel_hi:[1,0] neg_lo:[0,1] neg_hi:[0,1]
	v_add_co_u32_e32 v1, vcc, s1, v88
	v_bfi_b32 v18, s2, v19, v14
	v_bfi_b32 v14, s2, v14, v19
	v_mul_u32_u24_e32 v19, 3, v8
	s_movk_i32 s1, 0xfc
	v_lshlrev_b32_e32 v93, 2, v19
	ds_write_b32 v91, v5 offset:8
	v_mul_u32_u24_e32 v5, 3, v1
	v_add_co_u32_e32 v2, vcc, s1, v88
	v_lshlrev_b32_e32 v94, 2, v5
	ds_write2_b32 v93, v4, v3 offset1:1
	v_pk_add_f16 v4, v21, v15
	v_pk_add_f16 v5, v21, v15 neg_lo:[0,1] neg_hi:[0,1]
	v_mul_u32_u24_e32 v3, 3, v2
	v_pk_fma_f16 v4, v4, 0.5, v13 op_sel_hi:[1,0,1] neg_lo:[1,0,0] neg_hi:[1,0,0]
	v_pk_mul_f16 v5, v5, s0 op_sel_hi:[1,0]
	v_lshlrev_b32_e32 v92, 2, v3
	v_pk_add_f16 v3, v13, v21
	ds_write_b32 v93, v6 offset:8
	ds_write2_b32 v94, v7, v18 offset1:1
	ds_write_b32 v94, v14 offset:8
	v_pk_add_f16 v6, v4, v5 op_sel:[0,1] op_sel_hi:[1,0]
	v_pk_add_f16 v4, v4, v5 op_sel:[0,1] op_sel_hi:[1,0] neg_lo:[0,1] neg_hi:[0,1]
	v_pk_add_f16 v3, v3, v15
	v_bfi_b32 v5, s2, v6, v4
	ds_write2_b32 v92, v3, v5 offset1:1
	v_bfi_b32 v3, s2, v4, v6
	s_movk_i32 s1, 0xab
	ds_write_b32 v92, v3 offset:8
	v_mul_lo_u16_sdwa v3, v88, s1 dst_sel:DWORD dst_unused:UNUSED_PAD src0_sel:BYTE_0 src1_sel:DWORD
	v_lshrrev_b16_e32 v7, 9, v3
	v_mul_lo_u16_e32 v3, 3, v7
	v_sub_u16_e32 v3, v88, v3
	v_and_b32_e32 v15, 0xff, v3
	v_lshlrev_b32_e32 v3, 3, v15
	s_waitcnt lgkmcnt(0)
	; wave barrier
	s_waitcnt lgkmcnt(0)
	global_load_dwordx2 v[25:26], v3, s[14:15]
	v_mul_lo_u16_sdwa v5, v1, s1 dst_sel:DWORD dst_unused:UNUSED_PAD src0_sel:BYTE_0 src1_sel:DWORD
	v_lshrrev_b16_e32 v39, 9, v5
	v_mul_lo_u16_e32 v5, 3, v39
	v_sub_u16_e32 v5, v1, v5
	v_and_b32_e32 v40, 0xff, v5
	v_lshlrev_b32_e32 v13, 3, v40
	global_load_dwordx2 v[29:30], v13, s[14:15]
	v_mul_lo_u16_sdwa v3, v0, s1 dst_sel:DWORD dst_unused:UNUSED_PAD src0_sel:BYTE_0 src1_sel:DWORD
	v_lshrrev_b16_e32 v35, 9, v3
	v_mul_lo_u16_e32 v3, 3, v35
	v_sub_u16_e32 v3, v0, v3
	v_and_b32_e32 v36, 0xff, v3
	v_lshlrev_b32_e32 v3, 3, v36
	global_load_dwordx2 v[27:28], v3, s[14:15]
	v_mul_lo_u16_sdwa v3, v8, s1 dst_sel:DWORD dst_unused:UNUSED_PAD src0_sel:BYTE_0 src1_sel:DWORD
	v_lshrrev_b16_e32 v37, 9, v3
	v_mul_lo_u16_e32 v3, 3, v37
	v_sub_u16_e32 v3, v8, v3
	v_and_b32_e32 v38, 0xff, v3
	ds_read2_b32 v[3:4], v12 offset0:124 offset1:187
	v_lshlrev_b32_e32 v5, 3, v38
	global_load_dwordx2 v[31:32], v5, s[14:15]
	ds_read2_b32 v[5:6], v11 offset0:118 offset1:181
	ds_read2_b32 v[13:14], v73 offset1:63
	s_waitcnt lgkmcnt(2)
	v_lshrrev_b32_e32 v18, 16, v4
	s_mov_b32 s1, 0xbaee
	s_mov_b32 s2, 0xaaab
	s_waitcnt lgkmcnt(1)
	v_lshrrev_b32_e32 v20, 16, v5
	s_waitcnt lgkmcnt(0)
	v_lshrrev_b32_e32 v22, 16, v13
	ds_read_b32 v46, v73 offset:3528
	s_mov_b32 s3, 0xbb9c
	s_mov_b32 s6, 0xb8b4
	s_waitcnt vmcnt(3)
	v_mul_f16_sdwa v19, v4, v25 dst_sel:DWORD dst_unused:UNUSED_PAD src0_sel:DWORD src1_sel:WORD_1
	v_fma_f16 v19, v18, v25, v19
	v_mul_f16_sdwa v21, v5, v26 dst_sel:DWORD dst_unused:UNUSED_PAD src0_sel:DWORD src1_sel:WORD_1
	v_mul_f16_sdwa v18, v18, v25 dst_sel:DWORD dst_unused:UNUSED_PAD src0_sel:DWORD src1_sel:WORD_1
	v_fma_f16 v21, v20, v26, v21
	v_fma_f16 v4, v4, v25, -v18
	v_mul_f16_sdwa v18, v20, v26 dst_sel:DWORD dst_unused:UNUSED_PAD src0_sel:DWORD src1_sel:WORD_1
	v_add_f16_e32 v23, v22, v19
	v_sub_f16_e32 v41, v19, v21
	v_add_f16_e32 v19, v19, v21
	v_fma_f16 v5, v5, v26, -v18
	v_fma_f16 v42, v19, -0.5, v22
	v_add_f16_e32 v19, v4, v5
	v_add_f16_e32 v18, v13, v4
	v_sub_f16_e32 v43, v4, v5
	v_mul_u32_u24_e32 v4, 9, v7
	v_fma_f16 v13, v19, -0.5, v13
	v_add_f16_e32 v18, v18, v5
	v_add_lshl_u32 v95, v4, v15, 2
	v_fma_f16 v4, v41, s0, v13
	v_fma_f16 v5, v43, s1, v42
	v_pack_b32_f16 v15, v4, v5
	v_mul_u32_u24_sdwa v4, v2, s2 dst_sel:DWORD dst_unused:UNUSED_PAD src0_sel:WORD_0 src1_sel:DWORD
	v_lshrrev_b32_e32 v44, 17, v4
	v_mul_lo_u16_e32 v4, 3, v44
	v_sub_u16_e32 v45, v2, v4
	v_lshlrev_b16_e32 v4, 1, v45
	v_lshlrev_b32_e32 v4, 2, v4
	global_load_dwordx2 v[33:34], v4, s[14:15]
	v_add_f16_e32 v23, v23, v21
	v_pack_b32_f16 v7, v18, v23
	ds_read2_b32 v[4:5], v10 offset0:122 offset1:185
	ds_read2_b32 v[18:19], v73 offset0:126 offset1:189
	;; [unrolled: 1-line block ×4, first 2 shown]
	s_waitcnt lgkmcnt(0)
	; wave barrier
	s_waitcnt lgkmcnt(0)
	ds_write2_b32 v95, v7, v15 offset1:3
	v_lshrrev_b32_e32 v7, 16, v6
	s_waitcnt vmcnt(2)
	v_mul_f16_sdwa v15, v7, v28 dst_sel:DWORD dst_unused:UNUSED_PAD src0_sel:DWORD src1_sel:WORD_1
	v_fma_f16 v15, v6, v28, -v15
	v_mul_f16_sdwa v6, v6, v28 dst_sel:DWORD dst_unused:UNUSED_PAD src0_sel:DWORD src1_sel:WORD_1
	v_fma_f16 v6, v7, v28, v6
	v_fma_f16 v7, v41, s1, v13
	;; [unrolled: 1-line block ×3, first 2 shown]
	v_lshrrev_b32_e32 v41, 16, v4
	v_mul_f16_sdwa v42, v4, v27 dst_sel:DWORD dst_unused:UNUSED_PAD src0_sel:DWORD src1_sel:WORD_1
	v_fma_f16 v42, v41, v27, v42
	v_mul_f16_sdwa v41, v41, v27 dst_sel:DWORD dst_unused:UNUSED_PAD src0_sel:DWORD src1_sel:WORD_1
	v_fma_f16 v4, v4, v27, -v41
	v_lshrrev_b32_e32 v43, 16, v14
	v_add_f16_e32 v41, v4, v15
	v_add_f16_e32 v47, v43, v42
	v_fma_f16 v41, v41, -0.5, v14
	v_add_f16_e32 v14, v14, v4
	v_add_f16_e32 v47, v47, v6
	v_sub_f16_e32 v48, v42, v6
	v_add_f16_e32 v6, v42, v6
	v_pack_b32_f16 v7, v7, v13
	v_fma_f16 v6, v6, -0.5, v43
	v_add_f16_e32 v14, v14, v15
	v_sub_f16_e32 v4, v4, v15
	ds_write_b32 v95, v7 offset:24
	v_mul_u32_u24_e32 v7, 9, v35
	v_add_lshl_u32 v96, v7, v36, 2
	v_pack_b32_f16 v7, v14, v47
	v_fma_f16 v13, v48, s0, v41
	v_fma_f16 v14, v4, s1, v6
	v_pack_b32_f16 v13, v13, v14
	ds_write2_b32 v96, v7, v13 offset1:3
	v_lshrrev_b32_e32 v7, 16, v5
	s_waitcnt vmcnt(1)
	v_mul_f16_sdwa v13, v7, v31 dst_sel:DWORD dst_unused:UNUSED_PAD src0_sel:DWORD src1_sel:WORD_1
	v_fma_f16 v13, v5, v31, -v13
	v_mul_f16_sdwa v5, v5, v31 dst_sel:DWORD dst_unused:UNUSED_PAD src0_sel:DWORD src1_sel:WORD_1
	v_fma_f16 v4, v4, s0, v6
	v_lshrrev_b32_e32 v6, 16, v20
	v_mul_f16_sdwa v14, v20, v32 dst_sel:DWORD dst_unused:UNUSED_PAD src0_sel:DWORD src1_sel:WORD_1
	v_fma_f16 v5, v7, v31, v5
	v_fma_f16 v14, v6, v32, v14
	v_lshrrev_b32_e32 v15, 16, v18
	v_mul_f16_sdwa v6, v6, v32 dst_sel:DWORD dst_unused:UNUSED_PAD src0_sel:DWORD src1_sel:WORD_1
	v_fma_f16 v7, v48, s1, v41
	v_add_f16_e32 v35, v15, v5
	v_sub_f16_e32 v36, v5, v14
	v_add_f16_e32 v5, v5, v14
	v_fma_f16 v6, v20, v32, -v6
	v_add_f16_e32 v35, v35, v14
	v_fma_f16 v5, v5, -0.5, v15
	v_add_f16_e32 v14, v18, v13
	v_add_f16_e32 v15, v13, v6
	v_pack_b32_f16 v4, v7, v4
	v_add_f16_e32 v14, v14, v6
	v_sub_f16_e32 v6, v13, v6
	ds_write_b32 v96, v4 offset:24
	v_mul_u32_u24_e32 v4, 9, v37
	v_fma_f16 v7, v15, -0.5, v18
	v_add_lshl_u32 v97, v4, v38, 2
	v_pack_b32_f16 v4, v14, v35
	v_fma_f16 v13, v36, s0, v7
	v_fma_f16 v14, v6, s1, v5
	v_pack_b32_f16 v13, v13, v14
	ds_write2_b32 v97, v4, v13 offset1:3
	v_lshrrev_b32_e32 v4, 16, v21
	v_mul_f16_sdwa v14, v21, v30 dst_sel:DWORD dst_unused:UNUSED_PAD src0_sel:DWORD src1_sel:WORD_1
	v_mul_f16_sdwa v13, v4, v30 dst_sel:DWORD dst_unused:UNUSED_PAD src0_sel:DWORD src1_sel:WORD_1
	v_fma_f16 v4, v4, v30, v14
	v_fma_f16 v5, v6, s0, v5
	v_lshrrev_b32_e32 v6, 16, v22
	v_mul_f16_sdwa v14, v22, v29 dst_sel:DWORD dst_unused:UNUSED_PAD src0_sel:DWORD src1_sel:WORD_1
	v_fma_f16 v14, v6, v29, v14
	v_mul_f16_sdwa v6, v6, v29 dst_sel:DWORD dst_unused:UNUSED_PAD src0_sel:DWORD src1_sel:WORD_1
	v_lshrrev_b32_e32 v18, 16, v19
	v_fma_f16 v13, v21, v30, -v13
	v_fma_f16 v6, v22, v29, -v6
	v_add_f16_e32 v20, v18, v14
	v_fma_f16 v7, v36, s1, v7
	v_add_f16_e32 v15, v6, v13
	v_add_f16_e32 v20, v20, v4
	v_sub_f16_e32 v21, v14, v4
	v_add_f16_e32 v4, v14, v4
	v_fma_f16 v15, v15, -0.5, v19
	v_add_f16_e32 v19, v19, v6
	v_fma_f16 v4, v4, -0.5, v18
	v_sub_f16_e32 v6, v6, v13
	v_pack_b32_f16 v5, v7, v5
	v_add_f16_e32 v14, v19, v13
	ds_write_b32 v97, v5 offset:24
	v_mul_u32_u24_e32 v5, 9, v39
	v_fma_f16 v7, v21, s0, v15
	v_fma_f16 v13, v6, s1, v4
	v_add_lshl_u32 v98, v5, v40, 2
	v_pack_b32_f16 v5, v14, v20
	v_pack_b32_f16 v7, v7, v13
	ds_write2_b32 v98, v5, v7 offset1:3
	v_lshrrev_b32_e32 v5, 16, v23
	s_waitcnt vmcnt(0)
	v_mul_f16_sdwa v13, v23, v33 dst_sel:DWORD dst_unused:UNUSED_PAD src0_sel:DWORD src1_sel:WORD_1
	v_mul_f16_sdwa v7, v5, v33 dst_sel:DWORD dst_unused:UNUSED_PAD src0_sel:DWORD src1_sel:WORD_1
	v_fma_f16 v5, v5, v33, v13
	v_lshrrev_b32_e32 v13, 16, v46
	v_mul_f16_sdwa v14, v13, v34 dst_sel:DWORD dst_unused:UNUSED_PAD src0_sel:DWORD src1_sel:WORD_1
	v_mul_f16_sdwa v18, v46, v34 dst_sel:DWORD dst_unused:UNUSED_PAD src0_sel:DWORD src1_sel:WORD_1
	v_fma_f16 v7, v23, v33, -v7
	v_fma_f16 v14, v46, v34, -v14
	v_fma_f16 v13, v13, v34, v18
	v_lshrrev_b32_e32 v18, 16, v3
	v_fma_f16 v15, v21, s1, v15
	v_fma_f16 v4, v6, s0, v4
	v_add_f16_e32 v6, v7, v14
	v_add_f16_e32 v19, v18, v5
	v_sub_f16_e32 v20, v5, v13
	v_add_f16_e32 v5, v5, v13
	v_fma_f16 v6, v6, -0.5, v3
	v_add_f16_e32 v3, v3, v7
	v_fma_f16 v5, v5, -0.5, v18
	v_sub_f16_e32 v7, v7, v14
	v_pack_b32_f16 v4, v15, v4
	v_add_f16_e32 v19, v19, v13
	v_add_f16_e32 v3, v3, v14
	ds_write_b32 v98, v4 offset:24
	v_mad_legacy_u16 v4, v44, 9, v45
	v_fma_f16 v13, v20, s0, v6
	v_fma_f16 v14, v7, s1, v5
	v_pack_b32_f16 v3, v3, v19
	v_pack_b32_f16 v13, v13, v14
	v_lshlrev_b32_e32 v99, 2, v4
	ds_write2_b32 v99, v3, v13 offset1:3
	v_fma_f16 v3, v20, s1, v6
	v_fma_f16 v4, v7, s0, v5
	v_pack_b32_f16 v3, v3, v4
	ds_write_b32 v99, v3 offset:24
	v_mov_b32_e32 v3, 57
	v_mul_lo_u16_sdwa v4, v88, v3 dst_sel:DWORD dst_unused:UNUSED_PAD src0_sel:BYTE_0 src1_sel:DWORD
	v_lshrrev_b16_e32 v7, 9, v4
	v_mul_lo_u16_e32 v4, 9, v7
	v_sub_u16_e32 v4, v88, v4
	v_and_b32_e32 v15, 0xff, v4
	v_lshlrev_b32_e32 v4, 3, v15
	s_waitcnt lgkmcnt(0)
	; wave barrier
	s_waitcnt lgkmcnt(0)
	global_load_dwordx2 v[37:38], v4, s[14:15] offset:24
	v_mul_lo_u16_sdwa v4, v0, v3 dst_sel:DWORD dst_unused:UNUSED_PAD src0_sel:BYTE_0 src1_sel:DWORD
	v_lshrrev_b16_e32 v22, 9, v4
	v_mul_lo_u16_e32 v4, 9, v22
	v_sub_u16_e32 v4, v0, v4
	v_and_b32_e32 v23, 0xff, v4
	v_lshlrev_b32_e32 v4, 3, v23
	global_load_dwordx2 v[35:36], v4, s[14:15] offset:24
	v_mul_lo_u16_sdwa v4, v1, v3 dst_sel:DWORD dst_unused:UNUSED_PAD src0_sel:BYTE_0 src1_sel:DWORD
	v_lshrrev_b16_e32 v45, 9, v4
	v_mul_lo_u16_e32 v4, 9, v45
	s_mov_b32 s2, 0xe38f
	v_sub_u16_e32 v5, v1, v4
	v_mul_u32_u24_sdwa v1, v2, s2 dst_sel:DWORD dst_unused:UNUSED_PAD src0_sel:WORD_0 src1_sel:DWORD
	v_lshrrev_b32_e32 v46, 19, v1
	v_mul_lo_u16_e32 v1, 9, v46
	v_sub_u16_e32 v47, v2, v1
	v_mul_lo_u16_sdwa v1, v8, v3 dst_sel:DWORD dst_unused:UNUSED_PAD src0_sel:BYTE_0 src1_sel:DWORD
	v_lshrrev_b16_e32 v48, 9, v1
	v_mul_lo_u16_e32 v1, 9, v48
	v_sub_u16_e32 v1, v8, v1
	v_and_b32_e32 v49, 0xff, v1
	v_lshlrev_b32_e32 v3, 3, v49
	global_load_dwordx2 v[39:40], v3, s[14:15] offset:24
	v_and_b32_e32 v50, 0xff, v5
	v_lshlrev_b16_e32 v4, 3, v47
	v_lshlrev_b32_e32 v13, 3, v50
	global_load_dwordx2 v[41:42], v13, s[14:15] offset:24
	v_mov_b32_e32 v6, s15
	ds_read2_b32 v[1:2], v12 offset0:124 offset1:187
	v_add_co_u32_e32 v3, vcc, s14, v4
	v_addc_co_u32_e32 v4, vcc, 0, v6, vcc
	ds_read2_b32 v[5:6], v11 offset0:118 offset1:181
	ds_read2_b32 v[13:14], v73 offset1:63
	s_waitcnt lgkmcnt(2)
	v_lshrrev_b32_e32 v18, 16, v2
	s_movk_i32 s2, 0x34f2
	s_waitcnt lgkmcnt(1)
	v_lshrrev_b32_e32 v20, 16, v5
	s_waitcnt lgkmcnt(0)
	v_lshrrev_b32_e32 v43, 16, v13
	s_waitcnt vmcnt(3)
	v_mul_f16_sdwa v19, v2, v37 dst_sel:DWORD dst_unused:UNUSED_PAD src0_sel:DWORD src1_sel:WORD_1
	v_fma_f16 v19, v18, v37, v19
	v_mul_f16_sdwa v18, v18, v37 dst_sel:DWORD dst_unused:UNUSED_PAD src0_sel:DWORD src1_sel:WORD_1
	v_mul_f16_sdwa v21, v5, v38 dst_sel:DWORD dst_unused:UNUSED_PAD src0_sel:DWORD src1_sel:WORD_1
	v_fma_f16 v2, v2, v37, -v18
	v_mul_f16_sdwa v18, v20, v38 dst_sel:DWORD dst_unused:UNUSED_PAD src0_sel:DWORD src1_sel:WORD_1
	v_fma_f16 v21, v20, v38, v21
	v_add_f16_e32 v44, v43, v19
	v_fma_f16 v5, v5, v38, -v18
	v_add_f16_e32 v18, v13, v2
	v_add_f16_e32 v44, v44, v21
	v_sub_f16_e32 v51, v19, v21
	v_add_f16_e32 v19, v19, v21
	v_add_f16_e32 v18, v18, v5
	v_fma_f16 v52, v19, -0.5, v43
	v_add_f16_e32 v19, v2, v5
	v_sub_f16_e32 v53, v2, v5
	v_mul_lo_u16_e32 v2, 27, v7
	v_pack_b32_f16 v7, v18, v44
	global_load_dwordx2 v[43:44], v[3:4], off offset:24
	v_and_b32_e32 v2, 0xff, v2
	v_fma_f16 v13, v19, -0.5, v13
	v_add_lshl_u32 v100, v2, v15, 2
	v_fma_f16 v2, v51, s0, v13
	v_fma_f16 v5, v53, s1, v52
	v_pack_b32_f16 v15, v2, v5
	ds_read_b32 v54, v73 offset:3528
	ds_read2_b32 v[2:3], v10 offset0:122 offset1:185
	ds_read2_b32 v[4:5], v73 offset0:126 offset1:189
	ds_read2_b32 v[18:19], v17 offset0:116 offset1:179
	ds_read2_b32 v[20:21], v9 offset0:120 offset1:183
	s_waitcnt lgkmcnt(0)
	; wave barrier
	s_waitcnt lgkmcnt(0)
	ds_write2_b32 v100, v7, v15 offset1:9
	v_lshrrev_b32_e32 v7, 16, v6
	s_waitcnt vmcnt(3)
	v_mul_f16_sdwa v15, v7, v36 dst_sel:DWORD dst_unused:UNUSED_PAD src0_sel:DWORD src1_sel:WORD_1
	v_fma_f16 v15, v6, v36, -v15
	v_mul_f16_sdwa v6, v6, v36 dst_sel:DWORD dst_unused:UNUSED_PAD src0_sel:DWORD src1_sel:WORD_1
	v_fma_f16 v6, v7, v36, v6
	v_fma_f16 v7, v51, s1, v13
	;; [unrolled: 1-line block ×3, first 2 shown]
	v_lshrrev_b32_e32 v51, 16, v2
	v_mul_f16_sdwa v52, v2, v35 dst_sel:DWORD dst_unused:UNUSED_PAD src0_sel:DWORD src1_sel:WORD_1
	v_fma_f16 v52, v51, v35, v52
	v_mul_f16_sdwa v51, v51, v35 dst_sel:DWORD dst_unused:UNUSED_PAD src0_sel:DWORD src1_sel:WORD_1
	v_fma_f16 v2, v2, v35, -v51
	v_lshrrev_b32_e32 v53, 16, v14
	v_add_f16_e32 v51, v2, v15
	v_add_f16_e32 v55, v53, v52
	v_fma_f16 v51, v51, -0.5, v14
	v_add_f16_e32 v14, v14, v2
	v_add_f16_e32 v55, v55, v6
	v_sub_f16_e32 v56, v52, v6
	v_add_f16_e32 v6, v52, v6
	v_pack_b32_f16 v7, v7, v13
	v_fma_f16 v6, v6, -0.5, v53
	v_add_f16_e32 v14, v14, v15
	v_sub_f16_e32 v2, v2, v15
	ds_write_b32 v100, v7 offset:72
	v_mul_u32_u24_e32 v7, 27, v22
	v_add_lshl_u32 v101, v7, v23, 2
	v_pack_b32_f16 v7, v14, v55
	v_fma_f16 v13, v56, s0, v51
	v_fma_f16 v14, v2, s1, v6
	v_pack_b32_f16 v13, v13, v14
	ds_write2_b32 v101, v7, v13 offset1:9
	v_lshrrev_b32_e32 v7, 16, v3
	s_waitcnt vmcnt(2)
	v_mul_f16_sdwa v13, v7, v39 dst_sel:DWORD dst_unused:UNUSED_PAD src0_sel:DWORD src1_sel:WORD_1
	v_fma_f16 v13, v3, v39, -v13
	v_mul_f16_sdwa v3, v3, v39 dst_sel:DWORD dst_unused:UNUSED_PAD src0_sel:DWORD src1_sel:WORD_1
	v_fma_f16 v2, v2, s0, v6
	v_lshrrev_b32_e32 v6, 16, v18
	v_mul_f16_sdwa v14, v18, v40 dst_sel:DWORD dst_unused:UNUSED_PAD src0_sel:DWORD src1_sel:WORD_1
	v_fma_f16 v3, v7, v39, v3
	v_fma_f16 v14, v6, v40, v14
	v_lshrrev_b32_e32 v15, 16, v4
	v_mul_f16_sdwa v6, v6, v40 dst_sel:DWORD dst_unused:UNUSED_PAD src0_sel:DWORD src1_sel:WORD_1
	v_add_f16_e32 v22, v15, v3
	v_sub_f16_e32 v23, v3, v14
	v_add_f16_e32 v3, v3, v14
	v_fma_f16 v6, v18, v40, -v6
	v_fma_f16 v7, v56, s1, v51
	v_add_f16_e32 v22, v22, v14
	v_fma_f16 v3, v3, -0.5, v15
	v_add_f16_e32 v14, v4, v13
	v_add_f16_e32 v15, v13, v6
	;; [unrolled: 1-line block ×3, first 2 shown]
	v_sub_f16_e32 v6, v13, v6
	v_pack_b32_f16 v2, v7, v2
	v_fma_f16 v4, v15, -0.5, v4
	ds_write_b32 v101, v2 offset:72
	v_mul_u32_u24_e32 v2, 27, v48
	v_fma_f16 v7, v23, s0, v4
	v_fma_f16 v13, v6, s1, v3
	v_add_lshl_u32 v102, v2, v49, 2
	v_pack_b32_f16 v2, v14, v22
	v_pack_b32_f16 v7, v7, v13
	ds_write2_b32 v102, v2, v7 offset1:9
	v_lshrrev_b32_e32 v2, 16, v19
	s_waitcnt vmcnt(1)
	v_mul_f16_sdwa v13, v19, v42 dst_sel:DWORD dst_unused:UNUSED_PAD src0_sel:DWORD src1_sel:WORD_1
	v_mul_f16_sdwa v7, v2, v42 dst_sel:DWORD dst_unused:UNUSED_PAD src0_sel:DWORD src1_sel:WORD_1
	v_fma_f16 v2, v2, v42, v13
	v_fma_f16 v3, v6, s0, v3
	v_lshrrev_b32_e32 v6, 16, v20
	v_mul_f16_sdwa v13, v20, v41 dst_sel:DWORD dst_unused:UNUSED_PAD src0_sel:DWORD src1_sel:WORD_1
	v_fma_f16 v13, v6, v41, v13
	v_mul_f16_sdwa v6, v6, v41 dst_sel:DWORD dst_unused:UNUSED_PAD src0_sel:DWORD src1_sel:WORD_1
	v_fma_f16 v7, v19, v42, -v7
	v_fma_f16 v6, v20, v41, -v6
	v_lshrrev_b32_e32 v15, 16, v5
	v_fma_f16 v4, v23, s1, v4
	v_add_f16_e32 v14, v6, v7
	v_add_f16_e32 v18, v15, v13
	v_fma_f16 v14, v14, -0.5, v5
	v_add_f16_e32 v5, v5, v6
	v_add_f16_e32 v18, v18, v2
	v_sub_f16_e32 v19, v13, v2
	v_add_f16_e32 v2, v13, v2
	v_pack_b32_f16 v3, v4, v3
	v_fma_f16 v2, v2, -0.5, v15
	v_add_f16_e32 v5, v5, v7
	v_sub_f16_e32 v6, v6, v7
	ds_write_b32 v102, v3 offset:72
	v_mul_u32_u24_e32 v3, 27, v45
	v_add_lshl_u32 v103, v3, v50, 2
	v_pack_b32_f16 v3, v5, v18
	v_fma_f16 v4, v19, s0, v14
	v_fma_f16 v5, v6, s1, v2
	v_pack_b32_f16 v4, v4, v5
	ds_write2_b32 v103, v3, v4 offset1:9
	v_lshrrev_b32_e32 v3, 16, v21
	s_waitcnt vmcnt(0)
	v_mul_f16_sdwa v5, v21, v43 dst_sel:DWORD dst_unused:UNUSED_PAD src0_sel:DWORD src1_sel:WORD_1
	v_mul_f16_sdwa v4, v3, v43 dst_sel:DWORD dst_unused:UNUSED_PAD src0_sel:DWORD src1_sel:WORD_1
	v_fma_f16 v3, v3, v43, v5
	v_lshrrev_b32_e32 v5, 16, v54
	v_mul_f16_sdwa v7, v5, v44 dst_sel:DWORD dst_unused:UNUSED_PAD src0_sel:DWORD src1_sel:WORD_1
	v_mul_f16_sdwa v13, v54, v44 dst_sel:DWORD dst_unused:UNUSED_PAD src0_sel:DWORD src1_sel:WORD_1
	v_fma_f16 v4, v21, v43, -v4
	v_fma_f16 v7, v54, v44, -v7
	v_fma_f16 v5, v5, v44, v13
	v_fma_f16 v13, v19, s1, v14
	v_lshrrev_b32_e32 v14, 16, v1
	v_fma_f16 v2, v6, s0, v2
	v_add_f16_e32 v6, v4, v7
	v_add_f16_e32 v15, v14, v3
	v_sub_f16_e32 v18, v3, v5
	v_add_f16_e32 v3, v3, v5
	v_fma_f16 v6, v6, -0.5, v1
	v_add_f16_e32 v1, v1, v4
	v_fma_f16 v3, v3, -0.5, v14
	v_sub_f16_e32 v4, v4, v7
	v_pack_b32_f16 v2, v13, v2
	v_add_f16_e32 v15, v15, v5
	v_add_f16_e32 v1, v1, v7
	ds_write_b32 v103, v2 offset:72
	v_mad_legacy_u16 v2, v46, 27, v47
	v_fma_f16 v5, v18, s0, v6
	v_fma_f16 v7, v4, s1, v3
	v_pack_b32_f16 v1, v1, v15
	v_pack_b32_f16 v5, v5, v7
	v_lshlrev_b32_e32 v104, 2, v2
	ds_write2_b32 v104, v1, v5 offset1:9
	v_fma_f16 v1, v18, s1, v6
	v_fma_f16 v2, v4, s0, v3
	v_pack_b32_f16 v1, v1, v2
	v_mov_b32_e32 v13, 19
	ds_write_b32 v104, v1 offset:72
	v_mul_lo_u16_sdwa v1, v88, v13 dst_sel:DWORD dst_unused:UNUSED_PAD src0_sel:BYTE_0 src1_sel:DWORD
	v_lshrrev_b16_e32 v14, 9, v1
	v_mul_lo_u16_e32 v1, 27, v14
	v_sub_u16_e32 v1, v88, v1
	v_and_b32_e32 v15, 0xff, v1
	v_lshlrev_b32_e32 v1, 4, v15
	s_waitcnt lgkmcnt(0)
	; wave barrier
	s_waitcnt lgkmcnt(0)
	global_load_dwordx4 v[4:7], v1, s[14:15] offset:96
	v_mul_lo_u16_sdwa v1, v0, v13 dst_sel:DWORD dst_unused:UNUSED_PAD src0_sel:BYTE_0 src1_sel:DWORD
	ds_read2_b32 v[18:19], v73 offset0:126 offset1:189
	v_lshrrev_b16_e32 v51, 9, v1
	v_mul_lo_u16_e32 v1, 27, v51
	v_sub_u16_e32 v0, v0, v1
	ds_read2_b32 v[20:21], v10 offset0:122 offset1:185
	v_and_b32_e32 v52, 0xff, v0
	v_lshlrev_b32_e32 v0, 4, v52
	s_waitcnt lgkmcnt(1)
	v_lshrrev_b32_e32 v22, 16, v19
	global_load_dwordx4 v[0:3], v0, s[14:15] offset:96
	v_mul_u32_u24_e32 v14, 0x87, v14
	v_add_lshl_u32 v105, v14, v15, 2
	v_mul_lo_u16_sdwa v13, v8, v13 dst_sel:DWORD dst_unused:UNUSED_PAD src0_sel:BYTE_0 src1_sel:DWORD
	v_lshrrev_b16_e32 v70, 9, v13
	s_movk_i32 s0, 0x3b9c
	v_mul_lo_u16_e32 v13, 27, v70
	s_movk_i32 s1, 0x38b4
	v_sub_u16_e32 v13, v8, v13
	v_and_b32_e32 v71, 0xff, v13
	s_waitcnt vmcnt(1)
	v_mul_f16_sdwa v23, v19, v4 dst_sel:DWORD dst_unused:UNUSED_PAD src0_sel:DWORD src1_sel:WORD_1
	v_fma_f16 v53, v22, v4, v23
	v_mul_f16_sdwa v22, v22, v4 dst_sel:DWORD dst_unused:UNUSED_PAD src0_sel:DWORD src1_sel:WORD_1
	v_fma_f16 v54, v19, v4, -v22
	s_waitcnt lgkmcnt(0)
	v_lshrrev_b32_e32 v19, 16, v20
	ds_read2_b32 v[22:23], v9 offset0:120 offset1:183
	v_mul_f16_sdwa v45, v20, v5 dst_sel:DWORD dst_unused:UNUSED_PAD src0_sel:DWORD src1_sel:WORD_1
	v_fma_f16 v55, v19, v5, v45
	v_mul_f16_sdwa v19, v19, v5 dst_sel:DWORD dst_unused:UNUSED_PAD src0_sel:DWORD src1_sel:WORD_1
	v_fma_f16 v56, v20, v5, -v19
	ds_read2_b32 v[19:20], v17 offset0:116 offset1:179
	s_waitcnt lgkmcnt(1)
	v_lshrrev_b32_e32 v45, 16, v23
	v_mul_f16_sdwa v46, v23, v6 dst_sel:DWORD dst_unused:UNUSED_PAD src0_sel:DWORD src1_sel:WORD_1
	v_fma_f16 v57, v45, v6, v46
	v_mul_f16_sdwa v45, v45, v6 dst_sel:DWORD dst_unused:UNUSED_PAD src0_sel:DWORD src1_sel:WORD_1
	v_fma_f16 v23, v23, v6, -v45
	s_waitcnt lgkmcnt(0)
	v_lshrrev_b32_e32 v45, 16, v19
	v_mul_f16_sdwa v46, v19, v7 dst_sel:DWORD dst_unused:UNUSED_PAD src0_sel:DWORD src1_sel:WORD_1
	v_fma_f16 v58, v45, v7, v46
	v_mul_f16_sdwa v45, v45, v7 dst_sel:DWORD dst_unused:UNUSED_PAD src0_sel:DWORD src1_sel:WORD_1
	v_fma_f16 v19, v19, v7, -v45
	v_sub_f16_e32 v45, v54, v56
	v_sub_f16_e32 v46, v19, v23
	v_add_f16_e32 v59, v45, v46
	ds_read2_b32 v[45:46], v73 offset1:63
	v_sub_f16_e32 v64, v53, v58
	v_sub_f16_e32 v67, v54, v19
	;; [unrolled: 1-line block ×4, first 2 shown]
	s_waitcnt lgkmcnt(0)
	v_lshrrev_b32_e32 v61, 16, v45
	v_add_f16_e32 v14, v45, v54
	v_add_f16_e32 v15, v61, v53
	;; [unrolled: 1-line block ×8, first 2 shown]
	v_pack_b32_f16 v62, v14, v15
	v_add_f16_e32 v14, v56, v23
	v_add_f16_e32 v15, v55, v57
	v_fma_f16 v63, v14, -0.5, v45
	v_fma_f16 v66, v15, -0.5, v61
	v_fma_f16 v14, v64, s0, v63
	v_sub_f16_e32 v65, v55, v57
	v_fma_f16 v15, v67, s3, v66
	v_sub_f16_e32 v68, v56, v23
	v_add_f16_e32 v60, v47, v48
	v_fma_f16 v14, v65, s1, v14
	v_fma_f16 v15, v68, s6, v15
	;; [unrolled: 1-line block ×4, first 2 shown]
	ds_read2_b32 v[47:48], v12 offset0:124 offset1:187
	ds_read_b32 v72, v73 offset:3528
	v_lshlrev_b32_e32 v12, 4, v71
	v_pack_b32_f16 v69, v14, v15
	global_load_dwordx4 v[12:15], v12, s[14:15] offset:96
	v_sub_f16_e32 v56, v56, v54
	v_add_f16_e32 v54, v54, v19
	v_sub_f16_e32 v19, v23, v19
	v_fma_f16 v23, v54, -0.5, v45
	v_fma_f16 v45, v65, s3, v23
	v_fma_f16 v23, v65, s0, v23
	v_add_f16_e32 v19, v56, v19
	v_fma_f16 v45, v64, s1, v45
	v_fma_f16 v23, v64, s6, v23
	;; [unrolled: 1-line block ×4, first 2 shown]
	v_add_f16_e32 v23, v53, v58
	v_fma_f16 v23, v23, -0.5, v61
	v_sub_f16_e32 v53, v55, v53
	v_sub_f16_e32 v54, v57, v58
	v_add_f16_e32 v53, v53, v54
	v_fma_f16 v54, v68, s0, v23
	v_fma_f16 v23, v68, s3, v23
	;; [unrolled: 1-line block ×6, first 2 shown]
	v_pack_b32_f16 v45, v45, v54
	v_pack_b32_f16 v19, v19, v23
	ds_read2_b32 v[49:50], v11 offset0:118 offset1:181
	s_waitcnt lgkmcnt(0)
	; wave barrier
	s_waitcnt lgkmcnt(0)
	ds_write2_b32 v105, v45, v19 offset0:54 offset1:81
	v_lshrrev_b32_e32 v19, 16, v21
	s_waitcnt vmcnt(1)
	v_mul_f16_sdwa v23, v19, v1 dst_sel:DWORD dst_unused:UNUSED_PAD src0_sel:DWORD src1_sel:WORD_1
	v_fma_f16 v23, v21, v1, -v23
	v_mul_f16_sdwa v21, v21, v1 dst_sel:DWORD dst_unused:UNUSED_PAD src0_sel:DWORD src1_sel:WORD_1
	v_fma_f16 v19, v19, v1, v21
	v_lshrrev_b32_e32 v21, 16, v20
	v_mul_f16_sdwa v45, v21, v3 dst_sel:DWORD dst_unused:UNUSED_PAD src0_sel:DWORD src1_sel:WORD_1
	v_lshrrev_b32_e32 v54, 16, v47
	v_mul_f16_sdwa v55, v47, v0 dst_sel:DWORD dst_unused:UNUSED_PAD src0_sel:DWORD src1_sel:WORD_1
	v_fma_f16 v45, v20, v3, -v45
	v_mul_f16_sdwa v20, v20, v3 dst_sel:DWORD dst_unused:UNUSED_PAD src0_sel:DWORD src1_sel:WORD_1
	v_fma_f16 v55, v54, v0, v55
	v_mul_f16_sdwa v54, v54, v0 dst_sel:DWORD dst_unused:UNUSED_PAD src0_sel:DWORD src1_sel:WORD_1
	v_fma_f16 v20, v21, v3, v20
	v_fma_f16 v21, v64, s3, v63
	;; [unrolled: 1-line block ×3, first 2 shown]
	v_fma_f16 v47, v47, v0, -v54
	v_lshrrev_b32_e32 v54, 16, v49
	v_mul_f16_sdwa v56, v49, v2 dst_sel:DWORD dst_unused:UNUSED_PAD src0_sel:DWORD src1_sel:WORD_1
	v_fma_f16 v21, v65, s6, v21
	v_fma_f16 v53, v68, s1, v53
	;; [unrolled: 1-line block ×3, first 2 shown]
	v_mul_f16_sdwa v54, v54, v2 dst_sel:DWORD dst_unused:UNUSED_PAD src0_sel:DWORD src1_sel:WORD_1
	v_fma_f16 v21, v59, s2, v21
	v_fma_f16 v53, v60, s2, v53
	v_fma_f16 v49, v49, v2, -v54
	v_add_f16_e32 v54, v23, v49
	v_add_f16_e32 v57, v47, v45
	v_pack_b32_f16 v21, v21, v53
	v_fma_f16 v54, v54, -0.5, v46
	v_fma_f16 v57, v57, -0.5, v46
	v_lshrrev_b32_e32 v58, 16, v46
	v_add_f16_e32 v46, v46, v47
	ds_write_b32 v105, v21 offset:432
	v_mul_u32_u24_e32 v21, 0x87, v51
	v_add_lshl_u32 v106, v21, v52, 2
	v_add_f16_e32 v21, v46, v23
	v_add_f16_e32 v46, v58, v55
	;; [unrolled: 1-line block ×3, first 2 shown]
	v_sub_f16_e32 v59, v47, v23
	v_sub_f16_e32 v60, v45, v49
	v_add_f16_e32 v21, v21, v49
	v_add_f16_e32 v46, v46, v56
	;; [unrolled: 1-line block ×3, first 2 shown]
	v_sub_f16_e32 v60, v55, v19
	v_sub_f16_e32 v61, v20, v56
	v_add_f16_e32 v21, v21, v45
	v_add_f16_e32 v46, v46, v20
	;; [unrolled: 1-line block ×4, first 2 shown]
	v_pack_b32_f16 v21, v21, v46
	v_sub_f16_e32 v46, v55, v20
	v_fma_f16 v53, v53, -0.5, v58
	v_sub_f16_e32 v61, v47, v45
	ds_write2_b32 v105, v62, v69 offset1:27
	v_fma_f16 v51, v46, s0, v54
	v_sub_f16_e32 v52, v19, v56
	v_fma_f16 v62, v61, s3, v53
	v_sub_f16_e32 v63, v23, v49
	v_fma_f16 v51, v52, s1, v51
	v_fma_f16 v62, v63, s6, v62
	v_fma_f16 v51, v59, s2, v51
	v_fma_f16 v62, v60, s2, v62
	v_pack_b32_f16 v51, v51, v62
	ds_write2_b32 v106, v21, v51 offset1:27
	v_sub_f16_e32 v21, v23, v47
	v_sub_f16_e32 v23, v49, v45
	v_add_f16_e32 v21, v21, v23
	v_fma_f16 v23, v52, s3, v57
	v_fma_f16 v45, v52, s0, v57
	;; [unrolled: 1-line block ×6, first 2 shown]
	v_add_f16_e32 v45, v55, v20
	v_fma_f16 v45, v45, -0.5, v58
	v_sub_f16_e32 v19, v19, v55
	v_sub_f16_e32 v20, v56, v20
	v_add_f16_e32 v19, v19, v20
	v_fma_f16 v20, v63, s0, v45
	v_fma_f16 v45, v63, s3, v45
	;; [unrolled: 1-line block ×6, first 2 shown]
	v_pack_b32_f16 v20, v23, v20
	v_pack_b32_f16 v19, v21, v19
	ds_write2_b32 v106, v20, v19 offset0:54 offset1:81
	v_lshrrev_b32_e32 v19, 16, v48
	s_waitcnt vmcnt(0)
	v_mul_f16_sdwa v21, v48, v12 dst_sel:DWORD dst_unused:UNUSED_PAD src0_sel:DWORD src1_sel:WORD_1
	v_mul_f16_sdwa v20, v19, v12 dst_sel:DWORD dst_unused:UNUSED_PAD src0_sel:DWORD src1_sel:WORD_1
	v_fma_f16 v19, v19, v12, v21
	v_lshrrev_b32_e32 v21, 16, v22
	v_mul_f16_sdwa v23, v21, v13 dst_sel:DWORD dst_unused:UNUSED_PAD src0_sel:DWORD src1_sel:WORD_1
	v_fma_f16 v23, v22, v13, -v23
	v_mul_f16_sdwa v22, v22, v13 dst_sel:DWORD dst_unused:UNUSED_PAD src0_sel:DWORD src1_sel:WORD_1
	v_fma_f16 v21, v21, v13, v22
	v_lshrrev_b32_e32 v22, 16, v50
	v_mul_f16_sdwa v47, v50, v14 dst_sel:DWORD dst_unused:UNUSED_PAD src0_sel:DWORD src1_sel:WORD_1
	v_mul_f16_sdwa v45, v22, v14 dst_sel:DWORD dst_unused:UNUSED_PAD src0_sel:DWORD src1_sel:WORD_1
	v_fma_f16 v22, v22, v14, v47
	v_lshrrev_b32_e32 v47, 16, v72
	v_mul_f16_sdwa v49, v72, v15 dst_sel:DWORD dst_unused:UNUSED_PAD src0_sel:DWORD src1_sel:WORD_1
	v_fma_f16 v20, v48, v12, -v20
	v_mul_f16_sdwa v48, v47, v15 dst_sel:DWORD dst_unused:UNUSED_PAD src0_sel:DWORD src1_sel:WORD_1
	v_fma_f16 v47, v47, v15, v49
	v_fma_f16 v46, v46, s3, v54
	;; [unrolled: 1-line block ×7, first 2 shown]
	v_fma_f16 v45, v50, v14, -v45
	v_fma_f16 v48, v72, v15, -v48
	v_pack_b32_f16 v46, v46, v49
	v_add_f16_e32 v50, v23, v45
	v_add_f16_e32 v51, v20, v48
	v_lshrrev_b32_e32 v52, 16, v18
	ds_write_b32 v106, v46 offset:432
	v_mul_u32_u24_e32 v46, 0x87, v70
	v_fma_f16 v50, v50, -0.5, v18
	v_fma_f16 v51, v51, -0.5, v18
	v_add_f16_e32 v18, v18, v20
	v_add_lshl_u32 v107, v46, v71, 2
	v_add_f16_e32 v46, v52, v19
	v_add_f16_e32 v18, v18, v23
	v_add_f16_e32 v46, v46, v21
	v_add_f16_e32 v18, v18, v45
	v_add_f16_e32 v46, v46, v22
	v_sub_f16_e32 v53, v20, v23
	v_sub_f16_e32 v54, v48, v45
	v_add_f16_e32 v18, v18, v48
	v_add_f16_e32 v46, v46, v47
	;; [unrolled: 1-line block ×4, first 2 shown]
	v_sub_f16_e32 v54, v19, v21
	v_sub_f16_e32 v55, v47, v22
	v_pack_b32_f16 v18, v18, v46
	v_sub_f16_e32 v46, v19, v47
	v_fma_f16 v56, v56, -0.5, v52
	v_sub_f16_e32 v59, v20, v48
	v_add_f16_e32 v54, v54, v55
	v_fma_f16 v49, v46, s0, v50
	v_sub_f16_e32 v55, v21, v22
	v_fma_f16 v57, v59, s3, v56
	v_sub_f16_e32 v60, v23, v45
	v_fma_f16 v49, v55, s1, v49
	v_fma_f16 v57, v60, s6, v57
	;; [unrolled: 1-line block ×4, first 2 shown]
	v_pack_b32_f16 v49, v49, v57
	ds_write2_b32 v107, v18, v49 offset1:27
	v_sub_f16_e32 v18, v23, v20
	v_sub_f16_e32 v20, v45, v48
	v_add_f16_e32 v18, v18, v20
	v_fma_f16 v20, v55, s3, v51
	v_fma_f16 v23, v55, s0, v51
	;; [unrolled: 1-line block ×6, first 2 shown]
	v_add_f16_e32 v23, v19, v47
	v_fma_f16 v23, v23, -0.5, v52
	v_sub_f16_e32 v19, v21, v19
	v_sub_f16_e32 v21, v22, v47
	v_add_f16_e32 v19, v19, v21
	v_fma_f16 v21, v60, s0, v23
	v_fma_f16 v22, v60, s3, v23
	;; [unrolled: 1-line block ×6, first 2 shown]
	v_pack_b32_f16 v20, v20, v21
	v_pack_b32_f16 v18, v18, v19
	ds_write2_b32 v107, v20, v18 offset0:54 offset1:81
	v_mov_b32_e32 v18, s13
	v_add_co_u32_e32 v57, vcc, s12, v73
	v_addc_co_u32_e32 v58, vcc, 0, v18, vcc
	v_fma_f16 v18, v46, s3, v50
	v_fma_f16 v19, v59, s0, v56
	v_fma_f16 v18, v55, s6, v18
	v_fma_f16 v19, v60, s1, v19
	v_fma_f16 v108, v54, s2, v19
	v_fma_f16 v51, v53, s2, v18
	v_pack_b32_f16 v18, v51, v108
	ds_write_b32 v107, v18 offset:432
	s_waitcnt lgkmcnt(0)
	; wave barrier
	s_waitcnt lgkmcnt(0)
	ds_read2_b32 v[65:66], v10 offset0:14 offset1:77
	ds_read2_b32 v[63:64], v10 offset0:149 offset1:212
	;; [unrolled: 1-line block ×5, first 2 shown]
	ds_read2_b32 v[53:54], v73 offset1:63
	ds_read2_b32 v[67:68], v73 offset0:135 offset1:198
	s_load_dwordx2 s[2:3], s[4:5], 0x38
	v_cmp_gt_u16_e32 vcc, 9, v88
                                        ; implicit-def: $vgpr70
                                        ; implicit-def: $vgpr72
	s_and_saveexec_b64 s[0:1], vcc
	s_cbranch_execz .LBB0_3
; %bb.2:
	v_add_u32_e32 v10, 0x100, v73
	ds_read2_b32 v[51:52], v10 offset0:62 offset1:197
	ds_read2_b32 v[69:70], v9 offset0:12 offset1:147
	;; [unrolled: 1-line block ×3, first 2 shown]
	ds_read_b32 v109, v73 offset:3744
	s_waitcnt lgkmcnt(0)
	v_lshrrev_b32_e32 v108, 16, v51
	v_lshrrev_b32_e32 v115, 16, v52
	;; [unrolled: 1-line block ×7, first 2 shown]
.LBB0_3:
	s_or_b64 exec, exec, s[0:1]
	v_add_u32_e32 v11, -9, v88
	v_mad_u64_u32 v[9:10], s[0:1], v88, 24, s[14:15]
	v_cndmask_b32_e32 v8, v11, v8, vcc
	v_mul_hi_i32_i24_e32 v11, 24, v8
	v_mul_i32_i24_e32 v8, 24, v8
	v_mov_b32_e32 v45, s15
	v_add_co_u32_e64 v116, s[0:1], s14, v8
	v_addc_co_u32_e64 v117, s[0:1], v45, v11, s[0:1]
	global_load_dwordx4 v[16:19], v[9:10], off offset:528
	global_load_dwordx2 v[47:48], v[9:10], off offset:544
	global_load_dwordx4 v[20:23], v[9:10], off offset:2040
	global_load_dwordx2 v[49:50], v[9:10], off offset:2056
	s_nop 0
	global_load_dwordx4 v[8:11], v[116:117], off offset:528
	global_load_dwordx2 v[45:46], v[116:117], off offset:544
	s_waitcnt lgkmcnt(0)
	v_lshrrev_b32_e32 v116, 16, v67
	v_lshrrev_b32_e32 v117, 16, v65
	;; [unrolled: 1-line block ×10, first 2 shown]
	s_movk_i32 s0, 0x2b26
	s_movk_i32 s1, 0x3b00
	s_mov_b32 s4, 0xbcab
	s_movk_i32 s5, 0x39e0
	s_mov_b32 s6, 0xb9e0
	;; [unrolled: 2-line block ×3, first 2 shown]
	v_lshrrev_b32_e32 v124, 16, v64
	v_lshrrev_b32_e32 v125, 16, v62
	s_movk_i32 s15, 0x370e
	s_waitcnt vmcnt(5)
	v_mul_f16_sdwa v128, v116, v16 dst_sel:DWORD dst_unused:UNUSED_PAD src0_sel:DWORD src1_sel:WORD_1
	v_mul_f16_sdwa v129, v67, v16 dst_sel:DWORD dst_unused:UNUSED_PAD src0_sel:DWORD src1_sel:WORD_1
	v_fma_f16 v67, v67, v16, -v128
	s_waitcnt vmcnt(1)
	v_mul_f16_sdwa v156, v112, v10 dst_sel:DWORD dst_unused:UNUSED_PAD src0_sel:DWORD src1_sel:WORD_1
	v_fma_f16 v128, v70, v10, -v156
	v_mul_f16_sdwa v70, v70, v10 dst_sel:DWORD dst_unused:UNUSED_PAD src0_sel:DWORD src1_sel:WORD_1
	v_fma_f16 v70, v112, v10, v70
	v_mul_f16_sdwa v112, v113, v11 dst_sel:DWORD dst_unused:UNUSED_PAD src0_sel:DWORD src1_sel:WORD_1
	v_fma_f16 v112, v71, v11, -v112
	v_mul_f16_sdwa v71, v71, v11 dst_sel:DWORD dst_unused:UNUSED_PAD src0_sel:DWORD src1_sel:WORD_1
	v_fma_f16 v71, v113, v11, v71
	s_waitcnt vmcnt(0)
	v_mul_f16_sdwa v113, v110, v45 dst_sel:DWORD dst_unused:UNUSED_PAD src0_sel:DWORD src1_sel:WORD_1
	v_fma_f16 v113, v72, v45, -v113
	v_mul_f16_sdwa v72, v72, v45 dst_sel:DWORD dst_unused:UNUSED_PAD src0_sel:DWORD src1_sel:WORD_1
	v_mul_f16_sdwa v130, v117, v17 dst_sel:DWORD dst_unused:UNUSED_PAD src0_sel:DWORD src1_sel:WORD_1
	;; [unrolled: 1-line block ×7, first 2 shown]
	v_fma_f16 v72, v110, v45, v72
	v_mul_f16_sdwa v110, v111, v46 dst_sel:DWORD dst_unused:UNUSED_PAD src0_sel:DWORD src1_sel:WORD_1
	v_mul_f16_sdwa v132, v118, v18 dst_sel:DWORD dst_unused:UNUSED_PAD src0_sel:DWORD src1_sel:WORD_1
	;; [unrolled: 1-line block ×5, first 2 shown]
	v_fma_f16 v116, v116, v16, v129
	v_fma_f16 v65, v65, v17, -v130
	v_fma_f16 v117, v117, v17, v131
	v_fma_f16 v59, v59, v47, -v136
	;; [unrolled: 2-line block ×4, first 2 shown]
	v_mul_f16_sdwa v109, v109, v46 dst_sel:DWORD dst_unused:UNUSED_PAD src0_sel:DWORD src1_sel:WORD_1
	v_fma_f16 v63, v63, v18, -v132
	v_fma_f16 v118, v118, v18, v133
	v_fma_f16 v61, v61, v19, -v134
	v_fma_f16 v119, v119, v19, v135
	v_fma_f16 v109, v111, v46, v109
	v_add_f16_e32 v111, v67, v55
	v_add_f16_e32 v129, v116, v121
	v_sub_f16_e32 v55, v67, v55
	v_sub_f16_e32 v67, v116, v121
	v_add_f16_e32 v116, v65, v59
	v_add_f16_e32 v121, v117, v120
	v_sub_f16_e32 v59, v65, v59
	v_sub_f16_e32 v65, v117, v120
	;; [unrolled: 4-line block ×4, first 2 shown]
	v_sub_f16_e32 v111, v111, v117
	v_sub_f16_e32 v129, v129, v120
	;; [unrolled: 1-line block ×4, first 2 shown]
	v_add_f16_e32 v132, v61, v59
	v_add_f16_e32 v133, v63, v65
	v_sub_f16_e32 v134, v61, v59
	v_sub_f16_e32 v135, v63, v65
	;; [unrolled: 1-line block ×4, first 2 shown]
	v_add_f16_e32 v117, v117, v118
	v_add_f16_e32 v118, v120, v119
	v_sub_f16_e32 v61, v55, v61
	v_sub_f16_e32 v63, v67, v63
	v_add_f16_e32 v55, v132, v55
	v_add_f16_e32 v67, v133, v67
	;; [unrolled: 1-line block ×3, first 2 shown]
	v_add_f16_sdwa v120, v53, v118 dst_sel:DWORD dst_unused:UNUSED_PAD src0_sel:WORD_1 src1_sel:DWORD
	v_mul_f16_e32 v53, 0x3a52, v111
	v_mul_f16_e32 v111, 0x3a52, v129
	;; [unrolled: 1-line block ×8, first 2 shown]
	v_mul_f16_sdwa v140, v122, v20 dst_sel:DWORD dst_unused:UNUSED_PAD src0_sel:DWORD src1_sel:WORD_1
	v_mul_f16_sdwa v141, v68, v20 dst_sel:DWORD dst_unused:UNUSED_PAD src0_sel:DWORD src1_sel:WORD_1
	;; [unrolled: 1-line block ×8, first 2 shown]
	v_fma_f16 v117, v117, s4, v119
	v_fma_f16 v118, v118, s4, v120
	v_fma_f16 v116, v116, s0, v53
	v_fma_f16 v121, v121, s0, v111
	v_fma_f16 v129, v130, s5, -v129
	v_fma_f16 v132, v131, s5, -v132
	;; [unrolled: 1-line block ×4, first 2 shown]
	v_fma_f16 v130, v61, s7, v133
	v_fma_f16 v131, v63, s7, v134
	v_fma_f16 v59, v59, s1, -v133
	v_fma_f16 v61, v61, s14, -v135
	;; [unrolled: 1-line block ×3, first 2 shown]
	v_mul_f16_sdwa v144, v124, v22 dst_sel:DWORD dst_unused:UNUSED_PAD src0_sel:DWORD src1_sel:WORD_1
	v_mul_f16_sdwa v145, v64, v22 dst_sel:DWORD dst_unused:UNUSED_PAD src0_sel:DWORD src1_sel:WORD_1
	;; [unrolled: 1-line block ×4, first 2 shown]
	v_fma_f16 v68, v68, v20, -v140
	v_fma_f16 v122, v122, v20, v141
	v_fma_f16 v66, v66, v21, -v142
	v_fma_f16 v123, v123, v21, v143
	;; [unrolled: 2-line block ×4, first 2 shown]
	v_fma_f16 v65, v65, s1, -v134
	v_add_f16_e32 v116, v116, v117
	v_add_f16_e32 v129, v129, v117
	;; [unrolled: 1-line block ×4, first 2 shown]
	v_fma_f16 v117, v55, s15, v130
	v_fma_f16 v59, v55, s15, v59
	;; [unrolled: 1-line block ×4, first 2 shown]
	v_fma_f16 v64, v64, v22, -v144
	v_fma_f16 v124, v124, v22, v145
	v_fma_f16 v62, v62, v23, -v146
	v_fma_f16 v125, v125, v23, v147
	v_add_f16_e32 v121, v121, v118
	v_add_f16_e32 v132, v132, v118
	v_fma_f16 v118, v67, s15, v131
	v_fma_f16 v65, v67, s15, v65
	v_add_f16_e32 v131, v61, v53
	v_sub_f16_e32 v133, v111, v55
	v_sub_f16_e32 v136, v53, v61
	v_add_f16_e32 v111, v55, v111
	v_add_f16_e32 v53, v68, v56
	;; [unrolled: 1-line block ×6, first 2 shown]
	v_sub_f16_e32 v130, v121, v117
	v_sub_f16_e32 v134, v129, v65
	v_add_f16_e32 v135, v59, v132
	v_add_f16_e32 v129, v65, v129
	v_sub_f16_e32 v132, v132, v59
	v_sub_f16_e32 v116, v116, v118
	v_add_f16_e32 v117, v117, v121
	v_sub_f16_e32 v56, v68, v56
	v_sub_f16_e32 v59, v122, v127
	;; [unrolled: 1-line block ×4, first 2 shown]
	v_add_f16_e32 v66, v64, v62
	v_add_f16_e32 v68, v124, v125
	v_sub_f16_e32 v62, v62, v64
	v_sub_f16_e32 v64, v125, v124
	v_add_f16_e32 v118, v61, v53
	v_add_f16_e32 v121, v63, v55
	v_sub_f16_e32 v122, v61, v53
	v_sub_f16_e32 v123, v63, v55
	;; [unrolled: 1-line block ×6, first 2 shown]
	v_add_f16_e32 v124, v62, v60
	v_add_f16_e32 v125, v64, v65
	v_sub_f16_e32 v126, v62, v60
	v_sub_f16_e32 v127, v64, v65
	;; [unrolled: 1-line block ×4, first 2 shown]
	v_add_f16_e32 v66, v66, v118
	v_add_f16_e32 v68, v68, v121
	v_sub_f16_e32 v62, v56, v62
	v_sub_f16_e32 v64, v59, v64
	v_add_f16_e32 v56, v124, v56
	v_add_f16_e32 v59, v125, v59
	;; [unrolled: 1-line block ×3, first 2 shown]
	v_add_f16_sdwa v121, v54, v68 dst_sel:DWORD dst_unused:UNUSED_PAD src0_sel:WORD_1 src1_sel:DWORD
	v_mul_f16_e32 v53, 0x3a52, v53
	v_mul_f16_e32 v54, 0x3a52, v55
	;; [unrolled: 1-line block ×8, first 2 shown]
	v_mul_f16_sdwa v152, v115, v8 dst_sel:DWORD dst_unused:UNUSED_PAD src0_sel:DWORD src1_sel:WORD_1
	v_mul_f16_sdwa v153, v52, v8 dst_sel:DWORD dst_unused:UNUSED_PAD src0_sel:DWORD src1_sel:WORD_1
	;; [unrolled: 1-line block ×4, first 2 shown]
	v_fma_f16 v66, v66, s4, v118
	v_fma_f16 v68, v68, s4, v121
	;; [unrolled: 1-line block ×4, first 2 shown]
	v_fma_f16 v55, v122, s5, -v55
	v_fma_f16 v124, v123, s5, -v124
	;; [unrolled: 1-line block ×4, first 2 shown]
	v_fma_f16 v122, v62, s7, v125
	v_fma_f16 v123, v64, s7, v126
	v_fma_f16 v60, v60, s1, -v125
	v_fma_f16 v65, v65, s1, -v126
	;; [unrolled: 1-line block ×5, first 2 shown]
	v_fma_f16 v115, v115, v8, v153
	v_fma_f16 v69, v69, v9, -v154
	v_fma_f16 v114, v114, v9, v155
	v_add_f16_e32 v61, v61, v66
	v_add_f16_e32 v63, v63, v68
	;; [unrolled: 1-line block ×6, first 2 shown]
	v_fma_f16 v66, v56, s15, v122
	v_fma_f16 v68, v59, s15, v123
	;; [unrolled: 1-line block ×6, first 2 shown]
	v_add_f16_e32 v125, v59, v53
	v_sub_f16_e32 v126, v54, v56
	v_sub_f16_e32 v139, v53, v59
	v_add_f16_e32 v140, v56, v54
	v_add_f16_e32 v53, v52, v110
	;; [unrolled: 1-line block ×5, first 2 shown]
	v_pack_b32_f16 v67, v67, v130
	v_sub_f16_e32 v123, v63, v66
	v_add_f16_e32 v137, v60, v124
	v_sub_f16_e32 v124, v124, v60
	v_add_f16_e32 v141, v66, v63
	;; [unrolled: 2-line block ×3, first 2 shown]
	v_add_f16_e32 v63, v70, v71
	v_sub_f16_e32 v64, v112, v128
	v_add_f16_e32 v66, v56, v53
	v_add_f16_e32 v69, v59, v54
	ds_write_b32 v73, v67 offset:540
	v_pack_b32_f16 v67, v131, v133
	v_add_f16_e32 v122, v68, v61
	v_sub_f16_e32 v127, v55, v65
	v_add_f16_e32 v138, v65, v55
	v_sub_f16_e32 v68, v61, v68
	v_sub_f16_e32 v52, v52, v110
	;; [unrolled: 1-line block ×10, first 2 shown]
	v_add_f16_e32 v72, v64, v60
	v_sub_f16_e32 v110, v64, v60
	v_add_f16_e32 v62, v62, v66
	v_add_f16_e32 v63, v63, v69
	ds_write_b32 v73, v67 offset:1080
	v_pack_b32_f16 v67, v134, v135
	v_sub_f16_e32 v55, v115, v109
	v_add_f16_e32 v109, v65, v61
	v_sub_f16_e32 v112, v65, v61
	v_sub_f16_e32 v64, v52, v64
	;; [unrolled: 1-line block ×3, first 2 shown]
	v_add_f16_e32 v52, v72, v52
	v_add_f16_e32 v51, v51, v62
	;; [unrolled: 1-line block ×3, first 2 shown]
	v_mul_f16_e32 v53, 0x3a52, v53
	v_mul_f16_e32 v54, 0x3a52, v54
	;; [unrolled: 1-line block ×5, first 2 shown]
	ds_write_b32 v73, v67 offset:1620
	v_pack_b32_f16 v67, v129, v132
	v_sub_f16_e32 v65, v55, v65
	v_sub_f16_e32 v61, v61, v55
	v_add_f16_e32 v55, v109, v55
	v_mul_f16_e32 v109, 0xb846, v112
	v_mul_f16_e32 v110, 0x3b00, v60
	v_fma_f16 v62, v62, s4, v51
	v_fma_f16 v63, v63, s4, v66
	;; [unrolled: 1-line block ×4, first 2 shown]
	v_fma_f16 v69, v70, s5, -v69
	v_fma_f16 v72, v71, s5, -v72
	v_fma_f16 v54, v71, s6, -v54
	v_fma_f16 v60, v60, s1, -v108
	ds_write_b32 v73, v67 offset:2160
	v_pack_b32_f16 v67, v136, v111
	v_mul_f16_e32 v112, 0x3b00, v61
	v_fma_f16 v53, v70, s6, -v53
	v_fma_f16 v70, v64, s7, v108
	v_fma_f16 v71, v65, s7, v109
	v_fma_f16 v61, v61, s1, -v109
	v_fma_f16 v64, v64, s14, -v110
	v_add_f16_e32 v108, v56, v62
	v_add_f16_e32 v109, v59, v63
	;; [unrolled: 1-line block ×5, first 2 shown]
	v_fma_f16 v63, v52, s15, v60
	ds_write_b32 v73, v67 offset:2700
	v_pack_b32_f16 v67, v116, v117
	v_add_f16_e32 v72, v53, v62
	v_add_f16_e32 v62, v63, v69
	v_sub_f16_e32 v63, v69, v63
	v_pack_b32_f16 v69, v119, v120
	ds_write_b32 v73, v67 offset:3240
	v_pack_b32_f16 v67, v118, v121
	ds_write2_b32 v73, v69, v67 offset1:63
	v_pack_b32_f16 v67, v122, v123
	ds_write_b32 v73, v67 offset:792
	v_pack_b32_f16 v67, v125, v126
	ds_write_b32 v73, v67 offset:1332
	v_pack_b32_f16 v67, v127, v137
	v_fma_f16 v65, v65, s14, -v112
	ds_write_b32 v73, v67 offset:1872
	v_pack_b32_f16 v67, v138, v124
	v_fma_f16 v70, v52, s15, v70
	v_fma_f16 v71, v55, s15, v71
	;; [unrolled: 1-line block ×5, first 2 shown]
	ds_write_b32 v73, v67 offset:2412
	v_pack_b32_f16 v67, v139, v140
	v_add_f16_e32 v52, v71, v108
	v_sub_f16_e32 v60, v109, v70
	v_add_f16_e32 v53, v65, v72
	v_sub_f16_e32 v59, v110, v64
	v_sub_f16_e32 v54, v56, v61
	v_add_f16_e32 v55, v61, v56
	v_sub_f16_e32 v56, v72, v65
	v_add_f16_e32 v61, v64, v110
	;; [unrolled: 2-line block ×3, first 2 shown]
	ds_write_b32 v73, v67 offset:2952
	v_pack_b32_f16 v67, v68, v141
	ds_write_b32 v73, v67 offset:3492
	s_and_saveexec_b64 s[0:1], vcc
	s_cbranch_execz .LBB0_5
; %bb.4:
	s_mov_b32 s4, 0x5040100
	v_perm_b32 v51, v66, v51, s4
	v_perm_b32 v66, v60, v52, s4
	v_add_u32_e32 v67, 0x100, v73
	ds_write2_b32 v67, v51, v66 offset0:62 offset1:197
	v_perm_b32 v51, v59, v53, s4
	v_perm_b32 v66, v62, v54, s4
	v_add_u32_e32 v67, 0x600, v73
	ds_write2_b32 v67, v51, v66 offset0:12 offset1:147
	v_perm_b32 v51, v63, v55, s4
	v_perm_b32 v66, v61, v56, s4
	v_add_u32_e32 v67, 0xa00, v73
	ds_write2_b32 v67, v51, v66 offset0:26 offset1:161
	v_perm_b32 v51, v65, v64, s4
	ds_write_b32 v73, v51 offset:3744
.LBB0_5:
	s_or_b64 exec, exec, s[0:1]
	s_waitcnt lgkmcnt(0)
	; wave barrier
	s_waitcnt lgkmcnt(0)
	global_load_dword v70, v[57:58], off offset:3780
	s_add_u32 s0, s12, 0xec4
	s_addc_u32 s1, s13, 0
	v_lshlrev_b32_e32 v71, 2, v88
	global_load_dword v72, v71, s[0:1] offset:252
	global_load_dword v116, v71, s[0:1] offset:1260
	;; [unrolled: 1-line block ×10, first 2 shown]
	ds_read2_b32 v[68:69], v73 offset1:63
	global_load_dword v125, v71, s[0:1] offset:1008
	global_load_dword v126, v71, s[0:1] offset:3276
	;; [unrolled: 1-line block ×4, first 2 shown]
	v_add_u32_e32 v51, 0x200, v73
	v_add_u32_e32 v66, 0x800, v73
	;; [unrolled: 1-line block ×3, first 2 shown]
	s_waitcnt lgkmcnt(0)
	v_lshrrev_b32_e32 v71, 16, v68
	v_lshrrev_b32_e32 v108, 16, v69
	v_add_u32_e32 v57, 0xa00, v73
	v_add_u32_e32 v58, 0x600, v73
	s_movk_i32 s0, 0x3aee
	s_mov_b32 s1, 0xffff
	s_movk_i32 s5, 0x3b9c
	s_movk_i32 s6, 0x38b4
	;; [unrolled: 1-line block ×3, first 2 shown]
	s_waitcnt vmcnt(14)
	v_mul_f16_sdwa v109, v71, v70 dst_sel:DWORD dst_unused:UNUSED_PAD src0_sel:DWORD src1_sel:WORD_1
	v_mul_f16_sdwa v110, v68, v70 dst_sel:DWORD dst_unused:UNUSED_PAD src0_sel:DWORD src1_sel:WORD_1
	v_fma_f16 v68, v68, v70, -v109
	v_fma_f16 v70, v71, v70, v110
	v_pack_b32_f16 v68, v68, v70
	s_waitcnt vmcnt(13)
	v_mul_f16_sdwa v70, v108, v72 dst_sel:DWORD dst_unused:UNUSED_PAD src0_sel:DWORD src1_sel:WORD_1
	v_mul_f16_sdwa v71, v69, v72 dst_sel:DWORD dst_unused:UNUSED_PAD src0_sel:DWORD src1_sel:WORD_1
	ds_write_b32 v73, v68
	v_fma_f16 v109, v69, v72, -v70
	v_fma_f16 v72, v108, v72, v71
	ds_read2_b32 v[68:69], v51 offset0:124 offset1:187
	ds_read2_b32 v[70:71], v66 offset0:118 offset1:181
	v_pack_b32_f16 v72, v109, v72
	ds_read2_b32 v[108:109], v67 offset0:122 offset1:185
	ds_read2_b32 v[110:111], v73 offset0:126 offset1:189
	;; [unrolled: 1-line block ×4, first 2 shown]
	s_waitcnt lgkmcnt(5)
	v_lshrrev_b32_e32 v129, 16, v69
	s_waitcnt vmcnt(12)
	v_mul_f16_sdwa v130, v69, v116 dst_sel:DWORD dst_unused:UNUSED_PAD src0_sel:DWORD src1_sel:WORD_1
	s_waitcnt lgkmcnt(4)
	v_lshrrev_b32_e32 v131, 16, v70
	s_waitcnt vmcnt(11)
	v_mul_f16_sdwa v132, v70, v117 dst_sel:DWORD dst_unused:UNUSED_PAD src0_sel:DWORD src1_sel:WORD_1
	;; [unrolled: 4-line block ×3, first 2 shown]
	v_lshrrev_b32_e32 v135, 16, v71
	s_waitcnt vmcnt(9)
	v_mul_f16_sdwa v136, v71, v119 dst_sel:DWORD dst_unused:UNUSED_PAD src0_sel:DWORD src1_sel:WORD_1
	s_waitcnt lgkmcnt(2)
	v_lshrrev_b32_e32 v137, 16, v110
	s_waitcnt vmcnt(8)
	v_mul_f16_sdwa v138, v110, v120 dst_sel:DWORD dst_unused:UNUSED_PAD src0_sel:DWORD src1_sel:WORD_1
	v_lshrrev_b32_e32 v139, 16, v109
	s_waitcnt vmcnt(7)
	v_mul_f16_sdwa v140, v109, v121 dst_sel:DWORD dst_unused:UNUSED_PAD src0_sel:DWORD src1_sel:WORD_1
	s_waitcnt lgkmcnt(1)
	v_lshrrev_b32_e32 v141, 16, v112
	v_mul_f16_sdwa v145, v129, v116 dst_sel:DWORD dst_unused:UNUSED_PAD src0_sel:DWORD src1_sel:WORD_1
	v_fma_f16 v129, v129, v116, v130
	v_mul_f16_sdwa v130, v131, v117 dst_sel:DWORD dst_unused:UNUSED_PAD src0_sel:DWORD src1_sel:WORD_1
	v_fma_f16 v131, v131, v117, v132
	;; [unrolled: 2-line block ×3, first 2 shown]
	v_mul_f16_sdwa v134, v135, v119 dst_sel:DWORD dst_unused:UNUSED_PAD src0_sel:DWORD src1_sel:WORD_1
	s_waitcnt vmcnt(6)
	v_mul_f16_sdwa v142, v112, v122 dst_sel:DWORD dst_unused:UNUSED_PAD src0_sel:DWORD src1_sel:WORD_1
	v_fma_f16 v135, v135, v119, v136
	v_mul_f16_sdwa v136, v137, v120 dst_sel:DWORD dst_unused:UNUSED_PAD src0_sel:DWORD src1_sel:WORD_1
	v_fma_f16 v137, v137, v120, v138
	;; [unrolled: 2-line block ×3, first 2 shown]
	v_mul_f16_sdwa v140, v141, v122 dst_sel:DWORD dst_unused:UNUSED_PAD src0_sel:DWORD src1_sel:WORD_1
	v_fma_f16 v69, v69, v116, -v145
	v_fma_f16 v108, v108, v118, -v132
	v_fma_f16 v71, v71, v119, -v134
	v_fma_f16 v141, v141, v122, v142
	v_fma_f16 v110, v110, v120, -v136
	v_fma_f16 v112, v112, v122, -v140
	v_pack_b32_f16 v69, v69, v129
	v_pack_b32_f16 v108, v108, v133
	;; [unrolled: 1-line block ×5, first 2 shown]
	ds_write2_b32 v67, v69, v108 offset0:59 offset1:122
	ds_write2_b32 v73, v72, v110 offset0:63 offset1:126
	ds_write2_b32 v66, v71, v112 offset0:181 offset1:244
	s_waitcnt lgkmcnt(3)
	v_lshrrev_b32_e32 v71, 16, v114
	s_waitcnt vmcnt(4)
	v_mul_f16_sdwa v72, v71, v124 dst_sel:DWORD dst_unused:UNUSED_PAD src0_sel:DWORD src1_sel:WORD_1
	v_mul_f16_sdwa v108, v114, v124 dst_sel:DWORD dst_unused:UNUSED_PAD src0_sel:DWORD src1_sel:WORD_1
	v_fma_f16 v109, v109, v121, -v138
	v_fma_f16 v72, v114, v124, -v72
	v_fma_f16 v71, v71, v124, v108
	v_pack_b32_f16 v109, v109, v139
	v_pack_b32_f16 v71, v72, v71
	ds_write2_b32 v67, v109, v71 offset0:185 offset1:248
	v_lshrrev_b32_e32 v71, 16, v113
	s_waitcnt vmcnt(2)
	v_mul_f16_sdwa v72, v71, v126 dst_sel:DWORD dst_unused:UNUSED_PAD src0_sel:DWORD src1_sel:WORD_1
	v_mul_f16_sdwa v108, v113, v126 dst_sel:DWORD dst_unused:UNUSED_PAD src0_sel:DWORD src1_sel:WORD_1
	v_fma_f16 v72, v113, v126, -v72
	v_fma_f16 v71, v71, v126, v108
	v_pack_b32_f16 v71, v72, v71
	v_lshrrev_b32_e32 v72, 16, v68
	v_lshrrev_b32_e32 v143, 16, v111
	v_mul_f16_sdwa v108, v72, v125 dst_sel:DWORD dst_unused:UNUSED_PAD src0_sel:DWORD src1_sel:WORD_1
	v_mul_f16_sdwa v144, v111, v123 dst_sel:DWORD dst_unused:UNUSED_PAD src0_sel:DWORD src1_sel:WORD_1
	;; [unrolled: 1-line block ×3, first 2 shown]
	v_fma_f16 v108, v68, v125, -v108
	v_mul_f16_sdwa v68, v68, v125 dst_sel:DWORD dst_unused:UNUSED_PAD src0_sel:DWORD src1_sel:WORD_1
	v_fma_f16 v111, v111, v123, -v142
	v_fma_f16 v69, v143, v123, v144
	v_fma_f16 v68, v72, v125, v68
	v_pack_b32_f16 v69, v111, v69
	v_pack_b32_f16 v68, v108, v68
	ds_read_b32 v72, v73 offset:3528
	ds_write2_b32 v73, v69, v68 offset0:189 offset1:252
	v_lshrrev_b32_e32 v68, 16, v115
	s_waitcnt vmcnt(0)
	v_mul_f16_sdwa v69, v68, v128 dst_sel:DWORD dst_unused:UNUSED_PAD src0_sel:DWORD src1_sel:WORD_1
	v_mul_f16_sdwa v108, v115, v128 dst_sel:DWORD dst_unused:UNUSED_PAD src0_sel:DWORD src1_sel:WORD_1
	v_fma_f16 v70, v70, v117, -v130
	v_fma_f16 v69, v115, v128, -v69
	v_fma_f16 v68, v68, v128, v108
	v_pack_b32_f16 v70, v70, v131
	v_pack_b32_f16 v68, v69, v68
	ds_write2_b32 v66, v68, v70 offset0:55 offset1:118
	s_waitcnt lgkmcnt(2)
	v_lshrrev_b32_e32 v68, 16, v72
	v_mul_f16_sdwa v69, v68, v127 dst_sel:DWORD dst_unused:UNUSED_PAD src0_sel:DWORD src1_sel:WORD_1
	v_mul_f16_sdwa v70, v72, v127 dst_sel:DWORD dst_unused:UNUSED_PAD src0_sel:DWORD src1_sel:WORD_1
	v_fma_f16 v69, v72, v127, -v69
	v_fma_f16 v68, v68, v127, v70
	v_pack_b32_f16 v69, v69, v68
	v_add_u32_e32 v68, 0xc00, v73
	ds_write2_b32 v68, v71, v69 offset0:51 offset1:114
	s_waitcnt lgkmcnt(0)
	; wave barrier
	s_waitcnt lgkmcnt(0)
	ds_read2_b32 v[69:70], v73 offset1:63
	ds_read2_b32 v[71:72], v67 offset0:122 offset1:185
	ds_read2_b32 v[108:109], v66 offset0:118 offset1:181
	s_waitcnt lgkmcnt(1)
	v_pk_add_f16 v110, v70, v71
	s_waitcnt lgkmcnt(0)
	v_pk_add_f16 v113, v110, v109
	v_pk_add_f16 v110, v71, v109
	v_pk_add_f16 v71, v71, v109 neg_lo:[0,1] neg_hi:[0,1]
	v_pk_fma_f16 v70, v110, 0.5, v70 op_sel_hi:[1,0,1] neg_lo:[1,0,0] neg_hi:[1,0,0]
	v_pk_mul_f16 v71, v71, s0 op_sel_hi:[1,0]
	v_pk_add_f16 v111, v70, v71 op_sel:[0,1] op_sel_hi:[1,0] neg_lo:[0,1] neg_hi:[0,1]
	v_pk_add_f16 v112, v70, v71 op_sel:[0,1] op_sel_hi:[1,0]
	ds_read2_b32 v[70:71], v73 offset0:126 offset1:189
	ds_read2_b32 v[109:110], v57 offset0:116 offset1:179
	v_bfi_b32 v114, s1, v111, v112
	v_bfi_b32 v115, s1, v112, v111
	s_waitcnt lgkmcnt(1)
	v_pk_add_f16 v111, v70, v72
	s_waitcnt lgkmcnt(0)
	v_pk_add_f16 v116, v111, v109
	v_pk_add_f16 v111, v72, v109
	v_pk_fma_f16 v70, v111, 0.5, v70 op_sel_hi:[1,0,1] neg_lo:[1,0,0] neg_hi:[1,0,0]
	ds_read2_b32 v[111:112], v58 offset0:120 offset1:183
	v_pk_add_f16 v72, v72, v109 neg_lo:[0,1] neg_hi:[0,1]
	v_pk_mul_f16 v72, v72, s0 op_sel_hi:[1,0]
	v_pk_add_f16 v109, v70, v72 op_sel:[0,1] op_sel_hi:[1,0] neg_lo:[0,1] neg_hi:[0,1]
	v_pk_add_f16 v70, v70, v72 op_sel:[0,1] op_sel_hi:[1,0]
	v_bfi_b32 v72, s1, v109, v70
	v_bfi_b32 v109, s1, v70, v109
	s_waitcnt lgkmcnt(0)
	v_pk_add_f16 v70, v71, v111
	v_pk_add_f16 v117, v70, v110
	;; [unrolled: 1-line block ×3, first 2 shown]
	v_pk_fma_f16 v118, v70, 0.5, v71 op_sel_hi:[1,0,1] neg_lo:[1,0,0] neg_hi:[1,0,0]
	v_pk_add_f16 v70, v111, v110 neg_lo:[0,1] neg_hi:[0,1]
	v_pk_mul_f16 v110, v70, s0 op_sel_hi:[1,0]
	ds_read2_b32 v[70:71], v51 offset0:124 offset1:187
	ds_read_b32 v119, v73 offset:3528
	v_pk_add_f16 v111, v118, v110 op_sel:[0,1] op_sel_hi:[1,0] neg_lo:[0,1] neg_hi:[0,1]
	v_pk_add_f16 v110, v118, v110 op_sel:[0,1] op_sel_hi:[1,0]
	v_bfi_b32 v118, s1, v111, v110
	s_waitcnt lgkmcnt(1)
	v_pk_add_f16 v120, v69, v71
	v_pk_add_f16 v121, v71, v108
	v_pk_add_f16 v71, v71, v108 neg_lo:[0,1] neg_hi:[0,1]
	v_pk_fma_f16 v69, v121, 0.5, v69 op_sel_hi:[1,0,1] neg_lo:[1,0,0] neg_hi:[1,0,0]
	v_pk_mul_f16 v71, v71, s0 op_sel_hi:[1,0]
	v_pk_add_f16 v120, v120, v108
	v_pk_add_f16 v108, v69, v71 op_sel:[0,1] op_sel_hi:[1,0] neg_lo:[0,1] neg_hi:[0,1]
	v_pk_add_f16 v69, v69, v71 op_sel:[0,1] op_sel_hi:[1,0]
	v_bfi_b32 v71, s1, v108, v69
	v_bfi_b32 v69, s1, v69, v108
	;; [unrolled: 1-line block ×3, first 2 shown]
	s_waitcnt lgkmcnt(0)
	; wave barrier
	s_waitcnt lgkmcnt(0)
	ds_write2_b32 v90, v120, v71 offset1:1
	ds_write_b32 v90, v69 offset:8
	ds_write2_b32 v91, v113, v114 offset1:1
	ds_write_b32 v91, v115 offset:8
	ds_write2_b32 v93, v116, v72 offset1:1
	ds_write_b32 v93, v109 offset:8
	ds_write2_b32 v94, v117, v118 offset1:1
	ds_write_b32 v94, v110 offset:8
	v_pk_add_f16 v69, v112, v119
	v_pk_add_f16 v111, v70, v112
	v_pk_fma_f16 v69, v69, 0.5, v70 op_sel_hi:[1,0,1] neg_lo:[1,0,0] neg_hi:[1,0,0]
	v_pk_add_f16 v70, v112, v119 neg_lo:[0,1] neg_hi:[0,1]
	v_pk_mul_f16 v70, v70, s0 op_sel_hi:[1,0]
	v_pk_add_f16 v71, v69, v70 op_sel:[0,1] op_sel_hi:[1,0] neg_lo:[0,1] neg_hi:[0,1]
	v_pk_add_f16 v69, v69, v70 op_sel:[0,1] op_sel_hi:[1,0]
	v_pk_add_f16 v111, v111, v119
	v_bfi_b32 v70, s1, v71, v69
	v_bfi_b32 v69, s1, v69, v71
	ds_write2_b32 v92, v111, v70 offset1:1
	ds_write_b32 v92, v69 offset:8
	s_waitcnt lgkmcnt(0)
	; wave barrier
	s_waitcnt lgkmcnt(0)
	ds_read2_b32 v[69:70], v73 offset1:63
	ds_read2_b32 v[71:72], v51 offset0:124 offset1:187
	ds_read2_b32 v[90:91], v66 offset0:118 offset1:181
	ds_read2_b32 v[92:93], v67 offset0:122 offset1:185
	ds_read2_b32 v[110:111], v57 offset0:116 offset1:179
	ds_read2_b32 v[112:113], v58 offset0:120 offset1:183
	s_waitcnt lgkmcnt(4)
	v_lshrrev_b32_e32 v114, 16, v72
	v_mul_f16_sdwa v129, v25, v114 dst_sel:DWORD dst_unused:UNUSED_PAD src0_sel:WORD_1 src1_sel:DWORD
	s_waitcnt lgkmcnt(3)
	v_lshrrev_b32_e32 v115, 16, v90
	v_fma_f16 v129, v25, v72, v129
	v_mul_f16_sdwa v72, v25, v72 dst_sel:DWORD dst_unused:UNUSED_PAD src0_sel:WORD_1 src1_sel:DWORD
	v_fma_f16 v25, v25, v114, -v72
	v_mul_f16_sdwa v72, v26, v115 dst_sel:DWORD dst_unused:UNUSED_PAD src0_sel:WORD_1 src1_sel:DWORD
	s_waitcnt lgkmcnt(2)
	v_lshrrev_b32_e32 v117, 16, v92
	v_fma_f16 v72, v26, v90, v72
	v_mul_f16_sdwa v90, v26, v90 dst_sel:DWORD dst_unused:UNUSED_PAD src0_sel:WORD_1 src1_sel:DWORD
	v_fma_f16 v26, v26, v115, -v90
	v_mul_f16_sdwa v90, v27, v117 dst_sel:DWORD dst_unused:UNUSED_PAD src0_sel:WORD_1 src1_sel:DWORD
	v_lshrrev_b32_e32 v118, 16, v91
	v_fma_f16 v90, v27, v92, v90
	v_mul_f16_sdwa v92, v27, v92 dst_sel:DWORD dst_unused:UNUSED_PAD src0_sel:WORD_1 src1_sel:DWORD
	v_fma_f16 v27, v27, v117, -v92
	v_mul_f16_sdwa v92, v28, v118 dst_sel:DWORD dst_unused:UNUSED_PAD src0_sel:WORD_1 src1_sel:DWORD
	;; [unrolled: 5-line block ×3, first 2 shown]
	s_waitcnt lgkmcnt(1)
	v_lshrrev_b32_e32 v121, 16, v110
	v_fma_f16 v91, v31, v93, v91
	v_mul_f16_sdwa v93, v31, v93 dst_sel:DWORD dst_unused:UNUSED_PAD src0_sel:WORD_1 src1_sel:DWORD
	v_fma_f16 v31, v31, v120, -v93
	v_mul_f16_sdwa v93, v32, v121 dst_sel:DWORD dst_unused:UNUSED_PAD src0_sel:WORD_1 src1_sel:DWORD
	s_waitcnt lgkmcnt(0)
	v_lshrrev_b32_e32 v124, 16, v112
	v_fma_f16 v93, v32, v110, v93
	v_mul_f16_sdwa v110, v32, v110 dst_sel:DWORD dst_unused:UNUSED_PAD src0_sel:WORD_1 src1_sel:DWORD
	ds_read_b32 v123, v73 offset:3528
	v_fma_f16 v32, v32, v121, -v110
	v_mul_f16_sdwa v110, v29, v124 dst_sel:DWORD dst_unused:UNUSED_PAD src0_sel:WORD_1 src1_sel:DWORD
	v_lshrrev_b32_e32 v125, 16, v111
	v_fma_f16 v110, v29, v112, v110
	v_mul_f16_sdwa v112, v29, v112 dst_sel:DWORD dst_unused:UNUSED_PAD src0_sel:WORD_1 src1_sel:DWORD
	v_fma_f16 v29, v29, v124, -v112
	v_mul_f16_sdwa v112, v30, v125 dst_sel:DWORD dst_unused:UNUSED_PAD src0_sel:WORD_1 src1_sel:DWORD
	v_lshrrev_b32_e32 v127, 16, v113
	v_fma_f16 v112, v30, v111, v112
	v_mul_f16_sdwa v111, v30, v111 dst_sel:DWORD dst_unused:UNUSED_PAD src0_sel:WORD_1 src1_sel:DWORD
	v_fma_f16 v30, v30, v125, -v111
	v_mul_f16_sdwa v111, v33, v127 dst_sel:DWORD dst_unused:UNUSED_PAD src0_sel:WORD_1 src1_sel:DWORD
	s_waitcnt lgkmcnt(0)
	v_lshrrev_b32_e32 v128, 16, v123
	v_fma_f16 v111, v33, v113, v111
	v_mul_f16_sdwa v113, v33, v113 dst_sel:DWORD dst_unused:UNUSED_PAD src0_sel:WORD_1 src1_sel:DWORD
	v_fma_f16 v33, v33, v127, -v113
	v_mul_f16_sdwa v113, v34, v128 dst_sel:DWORD dst_unused:UNUSED_PAD src0_sel:WORD_1 src1_sel:DWORD
	v_mul_f16_sdwa v114, v34, v123 dst_sel:DWORD dst_unused:UNUSED_PAD src0_sel:WORD_1 src1_sel:DWORD
	v_add_f16_e32 v115, v129, v72
	v_lshrrev_b32_e32 v94, 16, v69
	v_fma_f16 v113, v34, v123, v113
	v_fma_f16 v34, v34, v128, -v114
	v_add_f16_e32 v114, v69, v129
	v_fma_f16 v69, v115, -0.5, v69
	v_sub_f16_e32 v115, v25, v26
	s_mov_b32 s1, 0xbaee
	ds_read2_b32 v[108:109], v73 offset0:126 offset1:189
	v_fma_f16 v117, v115, s1, v69
	v_fma_f16 v69, v115, s0, v69
	v_add_f16_e32 v115, v94, v25
	v_add_f16_e32 v25, v25, v26
	;; [unrolled: 1-line block ×3, first 2 shown]
	v_fma_f16 v25, v25, -0.5, v94
	v_sub_f16_e32 v26, v129, v72
	v_add_f16_e32 v94, v90, v92
	v_lshrrev_b32_e32 v116, 16, v70
	v_add_f16_e32 v114, v114, v72
	v_fma_f16 v72, v26, s0, v25
	v_fma_f16 v25, v26, s1, v25
	v_add_f16_e32 v26, v70, v90
	v_fma_f16 v70, v94, -0.5, v70
	v_sub_f16_e32 v94, v27, v28
	v_fma_f16 v118, v94, s1, v70
	v_fma_f16 v70, v94, s0, v70
	v_add_f16_e32 v94, v116, v27
	v_add_f16_e32 v27, v27, v28
	;; [unrolled: 1-line block ×4, first 2 shown]
	v_fma_f16 v27, v27, -0.5, v116
	v_sub_f16_e32 v28, v90, v92
	v_add_f16_e32 v92, v91, v93
	s_waitcnt lgkmcnt(0)
	v_lshrrev_b32_e32 v119, 16, v108
	v_fma_f16 v90, v28, s0, v27
	v_fma_f16 v27, v28, s1, v27
	v_add_f16_e32 v28, v108, v91
	v_fma_f16 v92, v92, -0.5, v108
	v_sub_f16_e32 v108, v31, v32
	v_fma_f16 v116, v108, s1, v92
	v_fma_f16 v92, v108, s0, v92
	v_add_f16_e32 v108, v119, v31
	v_add_f16_e32 v31, v31, v32
	;; [unrolled: 1-line block ×4, first 2 shown]
	v_fma_f16 v31, v31, -0.5, v119
	v_sub_f16_e32 v32, v91, v93
	v_add_f16_e32 v93, v110, v112
	v_lshrrev_b32_e32 v122, 16, v109
	v_fma_f16 v91, v32, s0, v31
	v_fma_f16 v31, v32, s1, v31
	v_add_f16_e32 v32, v109, v110
	v_fma_f16 v93, v93, -0.5, v109
	v_sub_f16_e32 v109, v29, v30
	v_fma_f16 v119, v109, s1, v93
	v_fma_f16 v93, v109, s0, v93
	v_add_f16_e32 v109, v122, v29
	v_add_f16_e32 v29, v29, v30
	;; [unrolled: 1-line block ×4, first 2 shown]
	v_fma_f16 v29, v29, -0.5, v122
	v_sub_f16_e32 v30, v110, v112
	v_add_f16_e32 v112, v111, v113
	v_lshrrev_b32_e32 v126, 16, v71
	v_fma_f16 v110, v30, s0, v29
	v_fma_f16 v29, v30, s1, v29
	v_add_f16_e32 v30, v71, v111
	v_fma_f16 v71, v112, -0.5, v71
	v_sub_f16_e32 v112, v33, v34
	v_fma_f16 v120, v112, s1, v71
	v_fma_f16 v71, v112, s0, v71
	v_add_f16_e32 v112, v126, v33
	v_add_f16_e32 v33, v33, v34
	;; [unrolled: 1-line block ×3, first 2 shown]
	v_fma_f16 v33, v33, -0.5, v126
	v_sub_f16_e32 v34, v111, v113
	v_pack_b32_f16 v25, v69, v25
	v_fma_f16 v111, v34, s0, v33
	v_fma_f16 v33, v34, s1, v33
	s_waitcnt lgkmcnt(0)
	; wave barrier
	v_pack_b32_f16 v34, v114, v115
	v_pack_b32_f16 v72, v117, v72
	ds_write_b32 v95, v25 offset:24
	v_pack_b32_f16 v25, v26, v94
	v_pack_b32_f16 v26, v118, v90
	ds_write2_b32 v95, v34, v72 offset1:3
	ds_write2_b32 v96, v25, v26 offset1:3
	v_pack_b32_f16 v25, v70, v27
	ds_write_b32 v96, v25 offset:24
	v_pack_b32_f16 v25, v28, v108
	v_pack_b32_f16 v26, v116, v91
	ds_write2_b32 v97, v25, v26 offset1:3
	v_pack_b32_f16 v25, v92, v31
	ds_write_b32 v97, v25 offset:24
	v_pack_b32_f16 v25, v32, v109
	v_pack_b32_f16 v26, v119, v110
	v_add_f16_e32 v30, v30, v113
	ds_write2_b32 v98, v25, v26 offset1:3
	v_pack_b32_f16 v25, v93, v29
	ds_write_b32 v98, v25 offset:24
	v_pack_b32_f16 v25, v30, v112
	v_pack_b32_f16 v26, v120, v111
	ds_write2_b32 v99, v25, v26 offset1:3
	v_pack_b32_f16 v25, v71, v33
	ds_write_b32 v99, v25 offset:24
	s_waitcnt lgkmcnt(0)
	; wave barrier
	s_waitcnt lgkmcnt(0)
	ds_read2_b32 v[25:26], v73 offset1:63
	ds_read2_b32 v[27:28], v51 offset0:124 offset1:187
	ds_read2_b32 v[29:30], v66 offset0:118 offset1:181
	;; [unrolled: 1-line block ×5, first 2 shown]
	s_waitcnt lgkmcnt(4)
	v_lshrrev_b32_e32 v91, 16, v28
	v_mul_f16_sdwa v114, v37, v91 dst_sel:DWORD dst_unused:UNUSED_PAD src0_sel:WORD_1 src1_sel:DWORD
	s_waitcnt lgkmcnt(3)
	v_lshrrev_b32_e32 v92, 16, v29
	v_fma_f16 v114, v37, v28, v114
	v_mul_f16_sdwa v28, v37, v28 dst_sel:DWORD dst_unused:UNUSED_PAD src0_sel:WORD_1 src1_sel:DWORD
	v_fma_f16 v28, v37, v91, -v28
	v_mul_f16_sdwa v37, v38, v92 dst_sel:DWORD dst_unused:UNUSED_PAD src0_sel:WORD_1 src1_sel:DWORD
	s_waitcnt lgkmcnt(2)
	v_lshrrev_b32_e32 v94, 16, v31
	v_fma_f16 v37, v38, v29, v37
	v_mul_f16_sdwa v29, v38, v29 dst_sel:DWORD dst_unused:UNUSED_PAD src0_sel:WORD_1 src1_sel:DWORD
	v_fma_f16 v29, v38, v92, -v29
	v_mul_f16_sdwa v38, v35, v94 dst_sel:DWORD dst_unused:UNUSED_PAD src0_sel:WORD_1 src1_sel:DWORD
	v_lshrrev_b32_e32 v95, 16, v30
	v_fma_f16 v38, v35, v31, v38
	v_mul_f16_sdwa v31, v35, v31 dst_sel:DWORD dst_unused:UNUSED_PAD src0_sel:WORD_1 src1_sel:DWORD
	v_fma_f16 v31, v35, v94, -v31
	v_mul_f16_sdwa v35, v36, v95 dst_sel:DWORD dst_unused:UNUSED_PAD src0_sel:WORD_1 src1_sel:DWORD
	;; [unrolled: 5-line block ×3, first 2 shown]
	s_waitcnt lgkmcnt(1)
	v_lshrrev_b32_e32 v98, 16, v69
	v_fma_f16 v36, v39, v32, v36
	v_mul_f16_sdwa v32, v39, v32 dst_sel:DWORD dst_unused:UNUSED_PAD src0_sel:WORD_1 src1_sel:DWORD
	v_fma_f16 v32, v39, v97, -v32
	v_mul_f16_sdwa v39, v40, v98 dst_sel:DWORD dst_unused:UNUSED_PAD src0_sel:WORD_1 src1_sel:DWORD
	s_waitcnt lgkmcnt(0)
	v_lshrrev_b32_e32 v109, 16, v71
	v_fma_f16 v39, v40, v69, v39
	v_mul_f16_sdwa v69, v40, v69 dst_sel:DWORD dst_unused:UNUSED_PAD src0_sel:WORD_1 src1_sel:DWORD
	ds_read_b32 v108, v73 offset:3528
	v_fma_f16 v40, v40, v98, -v69
	v_mul_f16_sdwa v69, v41, v109 dst_sel:DWORD dst_unused:UNUSED_PAD src0_sel:WORD_1 src1_sel:DWORD
	v_lshrrev_b32_e32 v110, 16, v70
	v_fma_f16 v69, v41, v71, v69
	v_mul_f16_sdwa v71, v41, v71 dst_sel:DWORD dst_unused:UNUSED_PAD src0_sel:WORD_1 src1_sel:DWORD
	v_fma_f16 v41, v41, v109, -v71
	v_mul_f16_sdwa v71, v42, v110 dst_sel:DWORD dst_unused:UNUSED_PAD src0_sel:WORD_1 src1_sel:DWORD
	v_lshrrev_b32_e32 v112, 16, v72
	v_fma_f16 v71, v42, v70, v71
	v_mul_f16_sdwa v70, v42, v70 dst_sel:DWORD dst_unused:UNUSED_PAD src0_sel:WORD_1 src1_sel:DWORD
	v_fma_f16 v42, v42, v110, -v70
	v_mul_f16_sdwa v70, v43, v112 dst_sel:DWORD dst_unused:UNUSED_PAD src0_sel:WORD_1 src1_sel:DWORD
	s_waitcnt lgkmcnt(0)
	v_lshrrev_b32_e32 v113, 16, v108
	v_fma_f16 v70, v43, v72, v70
	v_mul_f16_sdwa v72, v43, v72 dst_sel:DWORD dst_unused:UNUSED_PAD src0_sel:WORD_1 src1_sel:DWORD
	v_fma_f16 v43, v43, v112, -v72
	v_mul_f16_sdwa v72, v44, v113 dst_sel:DWORD dst_unused:UNUSED_PAD src0_sel:WORD_1 src1_sel:DWORD
	v_mul_f16_sdwa v91, v44, v108 dst_sel:DWORD dst_unused:UNUSED_PAD src0_sel:WORD_1 src1_sel:DWORD
	v_add_f16_e32 v92, v114, v37
	v_lshrrev_b32_e32 v90, 16, v25
	v_fma_f16 v72, v44, v108, v72
	v_fma_f16 v44, v44, v113, -v91
	v_add_f16_e32 v91, v25, v114
	v_fma_f16 v25, v92, -0.5, v25
	v_sub_f16_e32 v92, v28, v29
	v_fma_f16 v94, v92, s1, v25
	v_fma_f16 v25, v92, s0, v25
	v_add_f16_e32 v92, v90, v28
	v_add_f16_e32 v28, v28, v29
	ds_read2_b32 v[33:34], v73 offset0:126 offset1:189
	v_add_f16_e32 v92, v92, v29
	v_fma_f16 v28, v28, -0.5, v90
	v_sub_f16_e32 v29, v114, v37
	v_add_f16_e32 v90, v38, v35
	v_lshrrev_b32_e32 v93, 16, v26
	v_add_f16_e32 v91, v91, v37
	v_fma_f16 v37, v29, s0, v28
	v_fma_f16 v28, v29, s1, v28
	v_add_f16_e32 v29, v26, v38
	v_fma_f16 v26, v90, -0.5, v26
	v_sub_f16_e32 v90, v31, v30
	v_fma_f16 v95, v90, s1, v26
	v_fma_f16 v26, v90, s0, v26
	v_add_f16_e32 v90, v93, v31
	v_add_f16_e32 v90, v90, v30
	;; [unrolled: 1-line block ×3, first 2 shown]
	v_fma_f16 v30, v30, -0.5, v93
	v_sub_f16_e32 v31, v38, v35
	v_add_f16_e32 v38, v36, v39
	s_waitcnt lgkmcnt(0)
	v_lshrrev_b32_e32 v96, 16, v33
	v_add_f16_e32 v29, v29, v35
	v_fma_f16 v35, v31, s0, v30
	v_fma_f16 v30, v31, s1, v30
	v_add_f16_e32 v31, v33, v36
	v_fma_f16 v33, v38, -0.5, v33
	v_sub_f16_e32 v38, v32, v40
	v_fma_f16 v93, v38, s1, v33
	v_fma_f16 v33, v38, s0, v33
	v_add_f16_e32 v38, v96, v32
	v_add_f16_e32 v32, v32, v40
	;; [unrolled: 1-line block ×3, first 2 shown]
	v_fma_f16 v32, v32, -0.5, v96
	v_sub_f16_e32 v36, v36, v39
	v_add_f16_e32 v40, v69, v71
	v_lshrrev_b32_e32 v99, 16, v34
	v_add_f16_e32 v31, v31, v39
	v_fma_f16 v39, v36, s0, v32
	v_fma_f16 v32, v36, s1, v32
	v_add_f16_e32 v36, v34, v69
	v_fma_f16 v34, v40, -0.5, v34
	v_sub_f16_e32 v40, v41, v42
	v_fma_f16 v96, v40, s1, v34
	v_fma_f16 v34, v40, s0, v34
	v_add_f16_e32 v40, v99, v41
	v_add_f16_e32 v41, v41, v42
	;; [unrolled: 1-line block ×4, first 2 shown]
	v_fma_f16 v41, v41, -0.5, v99
	v_sub_f16_e32 v42, v69, v71
	v_add_f16_e32 v71, v70, v72
	v_lshrrev_b32_e32 v111, 16, v27
	v_fma_f16 v69, v42, s0, v41
	v_fma_f16 v41, v42, s1, v41
	v_add_f16_e32 v42, v27, v70
	v_fma_f16 v27, v71, -0.5, v27
	v_sub_f16_e32 v71, v43, v44
	v_fma_f16 v97, v71, s1, v27
	v_fma_f16 v27, v71, s0, v27
	v_add_f16_e32 v71, v111, v43
	v_add_f16_e32 v43, v43, v44
	v_add_f16_e32 v71, v71, v44
	v_fma_f16 v43, v43, -0.5, v111
	v_sub_f16_e32 v44, v70, v72
	v_pack_b32_f16 v25, v25, v28
	v_fma_f16 v70, v44, s0, v43
	v_fma_f16 v43, v44, s1, v43
	s_waitcnt lgkmcnt(0)
	; wave barrier
	v_pack_b32_f16 v44, v91, v92
	v_pack_b32_f16 v37, v94, v37
	ds_write_b32 v100, v25 offset:72
	v_pack_b32_f16 v25, v29, v90
	v_pack_b32_f16 v28, v95, v35
	ds_write2_b32 v100, v44, v37 offset1:9
	ds_write2_b32 v101, v25, v28 offset1:9
	v_pack_b32_f16 v25, v26, v30
	ds_write_b32 v101, v25 offset:72
	v_pack_b32_f16 v25, v31, v38
	v_pack_b32_f16 v26, v93, v39
	ds_write2_b32 v102, v25, v26 offset1:9
	v_pack_b32_f16 v25, v33, v32
	ds_write_b32 v102, v25 offset:72
	v_pack_b32_f16 v25, v36, v40
	v_pack_b32_f16 v26, v96, v69
	v_add_f16_e32 v42, v42, v72
	ds_write2_b32 v103, v25, v26 offset1:9
	v_pack_b32_f16 v25, v34, v41
	ds_write_b32 v103, v25 offset:72
	v_pack_b32_f16 v25, v42, v71
	v_pack_b32_f16 v26, v97, v70
	ds_write2_b32 v104, v25, v26 offset1:9
	v_pack_b32_f16 v25, v27, v43
	ds_write_b32 v104, v25 offset:72
	s_waitcnt lgkmcnt(0)
	; wave barrier
	s_waitcnt lgkmcnt(0)
	ds_read2_b32 v[25:26], v73 offset1:63
	ds_read2_b32 v[27:28], v73 offset0:126 offset1:189
	ds_read2_b32 v[29:30], v67 offset0:122 offset1:185
	;; [unrolled: 1-line block ×5, first 2 shown]
	s_waitcnt lgkmcnt(4)
	v_lshrrev_b32_e32 v40, 16, v28
	v_mul_f16_sdwa v95, v4, v40 dst_sel:DWORD dst_unused:UNUSED_PAD src0_sel:WORD_1 src1_sel:DWORD
	s_waitcnt lgkmcnt(3)
	v_lshrrev_b32_e32 v41, 16, v29
	v_fma_f16 v95, v4, v28, v95
	v_mul_f16_sdwa v28, v4, v28 dst_sel:DWORD dst_unused:UNUSED_PAD src0_sel:WORD_1 src1_sel:DWORD
	v_fma_f16 v4, v4, v40, -v28
	v_mul_f16_sdwa v28, v5, v41 dst_sel:DWORD dst_unused:UNUSED_PAD src0_sel:WORD_1 src1_sel:DWORD
	s_waitcnt lgkmcnt(2)
	v_lshrrev_b32_e32 v42, 16, v32
	v_fma_f16 v28, v5, v29, v28
	v_mul_f16_sdwa v29, v5, v29 dst_sel:DWORD dst_unused:UNUSED_PAD src0_sel:WORD_1 src1_sel:DWORD
	v_fma_f16 v5, v5, v41, -v29
	v_mul_f16_sdwa v29, v6, v42 dst_sel:DWORD dst_unused:UNUSED_PAD src0_sel:WORD_1 src1_sel:DWORD
	s_waitcnt lgkmcnt(1)
	v_lshrrev_b32_e32 v43, 16, v33
	v_fma_f16 v29, v6, v32, v29
	v_mul_f16_sdwa v32, v6, v32 dst_sel:DWORD dst_unused:UNUSED_PAD src0_sel:WORD_1 src1_sel:DWORD
	ds_read2_b32 v[37:38], v66 offset0:118 offset1:181
	v_fma_f16 v6, v6, v42, -v32
	v_mul_f16_sdwa v32, v7, v43 dst_sel:DWORD dst_unused:UNUSED_PAD src0_sel:WORD_1 src1_sel:DWORD
	s_waitcnt lgkmcnt(1)
	v_lshrrev_b32_e32 v51, 16, v35
	v_fma_f16 v32, v7, v33, v32
	v_mul_f16_sdwa v33, v7, v33 dst_sel:DWORD dst_unused:UNUSED_PAD src0_sel:WORD_1 src1_sel:DWORD
	v_fma_f16 v7, v7, v43, -v33
	v_mul_f16_sdwa v33, v0, v51 dst_sel:DWORD dst_unused:UNUSED_PAD src0_sel:WORD_1 src1_sel:DWORD
	v_lshrrev_b32_e32 v69, 16, v30
	v_fma_f16 v33, v0, v35, v33
	v_mul_f16_sdwa v35, v0, v35 dst_sel:DWORD dst_unused:UNUSED_PAD src0_sel:WORD_1 src1_sel:DWORD
	v_fma_f16 v0, v0, v51, -v35
	v_mul_f16_sdwa v35, v1, v69 dst_sel:DWORD dst_unused:UNUSED_PAD src0_sel:WORD_1 src1_sel:DWORD
	s_waitcnt lgkmcnt(0)
	v_lshrrev_b32_e32 v70, 16, v37
	v_fma_f16 v35, v1, v30, v35
	v_mul_f16_sdwa v30, v1, v30 dst_sel:DWORD dst_unused:UNUSED_PAD src0_sel:WORD_1 src1_sel:DWORD
	v_fma_f16 v1, v1, v69, -v30
	v_mul_f16_sdwa v30, v2, v70 dst_sel:DWORD dst_unused:UNUSED_PAD src0_sel:WORD_1 src1_sel:DWORD
	v_lshrrev_b32_e32 v71, 16, v34
	v_fma_f16 v30, v2, v37, v30
	v_mul_f16_sdwa v37, v2, v37 dst_sel:DWORD dst_unused:UNUSED_PAD src0_sel:WORD_1 src1_sel:DWORD
	v_fma_f16 v2, v2, v70, -v37
	v_mul_f16_sdwa v37, v3, v71 dst_sel:DWORD dst_unused:UNUSED_PAD src0_sel:WORD_1 src1_sel:DWORD
	v_lshrrev_b32_e32 v91, 16, v36
	v_fma_f16 v37, v3, v34, v37
	v_mul_f16_sdwa v34, v3, v34 dst_sel:DWORD dst_unused:UNUSED_PAD src0_sel:WORD_1 src1_sel:DWORD
	ds_read_b32 v72, v73 offset:3528
	v_fma_f16 v3, v3, v71, -v34
	v_mul_f16_sdwa v34, v12, v91 dst_sel:DWORD dst_unused:UNUSED_PAD src0_sel:WORD_1 src1_sel:DWORD
	v_lshrrev_b32_e32 v92, 16, v31
	v_fma_f16 v34, v12, v36, v34
	v_mul_f16_sdwa v36, v12, v36 dst_sel:DWORD dst_unused:UNUSED_PAD src0_sel:WORD_1 src1_sel:DWORD
	v_fma_f16 v12, v12, v91, -v36
	v_mul_f16_sdwa v36, v13, v92 dst_sel:DWORD dst_unused:UNUSED_PAD src0_sel:WORD_1 src1_sel:DWORD
	v_lshrrev_b32_e32 v93, 16, v38
	v_fma_f16 v36, v13, v31, v36
	v_mul_f16_sdwa v31, v13, v31 dst_sel:DWORD dst_unused:UNUSED_PAD src0_sel:WORD_1 src1_sel:DWORD
	v_add_f16_e32 v41, v28, v29
	v_fma_f16 v13, v13, v92, -v31
	v_mul_f16_sdwa v31, v14, v93 dst_sel:DWORD dst_unused:UNUSED_PAD src0_sel:WORD_1 src1_sel:DWORD
	v_fma_f16 v41, v41, -0.5, v25
	v_sub_f16_e32 v42, v4, v7
	s_mov_b32 s0, 0xbb9c
	s_waitcnt lgkmcnt(0)
	v_lshrrev_b32_e32 v94, 16, v72
	v_fma_f16 v31, v14, v38, v31
	v_mul_f16_sdwa v38, v14, v38 dst_sel:DWORD dst_unused:UNUSED_PAD src0_sel:WORD_1 src1_sel:DWORD
	v_fma_f16 v43, v42, s0, v41
	v_sub_f16_e32 v51, v5, v6
	s_mov_b32 s1, 0xb8b4
	v_sub_f16_e32 v69, v95, v28
	v_sub_f16_e32 v70, v32, v29
	v_fma_f16 v41, v42, s5, v41
	v_fma_f16 v14, v14, v93, -v38
	v_mul_f16_sdwa v38, v15, v94 dst_sel:DWORD dst_unused:UNUSED_PAD src0_sel:WORD_1 src1_sel:DWORD
	v_mul_f16_sdwa v40, v15, v72 dst_sel:DWORD dst_unused:UNUSED_PAD src0_sel:WORD_1 src1_sel:DWORD
	v_fma_f16 v43, v51, s1, v43
	v_add_f16_e32 v69, v69, v70
	v_fma_f16 v41, v51, s6, v41
	v_fma_f16 v38, v15, v72, v38
	v_fma_f16 v15, v15, v94, -v40
	v_add_f16_e32 v40, v25, v95
	v_fma_f16 v43, v69, s4, v43
	v_fma_f16 v41, v69, s4, v41
	v_add_f16_e32 v69, v95, v32
	v_lshrrev_b32_e32 v39, 16, v25
	v_add_f16_e32 v40, v40, v28
	v_fma_f16 v25, v69, -0.5, v25
	v_add_f16_e32 v40, v40, v29
	v_fma_f16 v69, v51, s5, v25
	v_sub_f16_e32 v70, v28, v95
	v_sub_f16_e32 v71, v29, v32
	v_fma_f16 v25, v51, s0, v25
	v_add_f16_e32 v51, v5, v6
	v_add_f16_e32 v40, v40, v32
	v_fma_f16 v69, v42, s1, v69
	v_add_f16_e32 v70, v70, v71
	v_fma_f16 v25, v42, s6, v25
	v_fma_f16 v51, v51, -0.5, v39
	v_sub_f16_e32 v32, v95, v32
	v_fma_f16 v69, v70, s4, v69
	v_fma_f16 v25, v70, s4, v25
	;; [unrolled: 1-line block ×3, first 2 shown]
	v_sub_f16_e32 v28, v28, v29
	v_fma_f16 v29, v28, s6, v70
	v_sub_f16_e32 v70, v4, v5
	v_sub_f16_e32 v71, v7, v6
	v_fma_f16 v51, v32, s0, v51
	v_add_f16_e32 v42, v39, v4
	v_add_f16_e32 v70, v70, v71
	v_fma_f16 v51, v28, s1, v51
	v_add_f16_e32 v42, v42, v5
	v_fma_f16 v29, v70, s4, v29
	v_fma_f16 v70, v70, s4, v51
	v_add_f16_e32 v51, v4, v7
	v_add_f16_e32 v42, v42, v6
	v_fma_f16 v39, v51, -0.5, v39
	v_add_f16_e32 v42, v42, v7
	v_fma_f16 v51, v28, s0, v39
	v_sub_f16_e32 v4, v5, v4
	v_sub_f16_e32 v5, v6, v7
	v_add_f16_e32 v7, v35, v30
	v_fma_f16 v51, v32, s6, v51
	v_add_f16_e32 v4, v4, v5
	v_fma_f16 v6, v28, s5, v39
	v_fma_f16 v7, v7, -0.5, v26
	v_sub_f16_e32 v28, v0, v3
	v_fma_f16 v5, v4, s4, v51
	v_fma_f16 v6, v32, s1, v6
	;; [unrolled: 1-line block ×3, first 2 shown]
	v_sub_f16_e32 v39, v1, v2
	v_sub_f16_e32 v51, v33, v35
	;; [unrolled: 1-line block ×3, first 2 shown]
	v_fma_f16 v7, v28, s5, v7
	v_fma_f16 v32, v39, s1, v32
	v_add_f16_e32 v51, v51, v71
	v_fma_f16 v7, v39, s6, v7
	v_fma_f16 v32, v51, s4, v32
	;; [unrolled: 1-line block ×3, first 2 shown]
	v_add_f16_e32 v51, v33, v37
	v_lshrrev_b32_e32 v44, 16, v26
	v_fma_f16 v4, v4, s4, v6
	v_add_f16_e32 v6, v26, v33
	v_fma_f16 v26, v51, -0.5, v26
	v_add_f16_e32 v6, v6, v35
	v_fma_f16 v51, v39, s5, v26
	v_fma_f16 v26, v39, s0, v26
	v_add_f16_e32 v39, v1, v2
	v_add_f16_e32 v6, v6, v30
	v_sub_f16_e32 v71, v35, v33
	v_sub_f16_e32 v72, v30, v37
	v_fma_f16 v39, v39, -0.5, v44
	v_sub_f16_e32 v33, v33, v37
	v_add_f16_e32 v6, v6, v37
	v_fma_f16 v51, v28, s1, v51
	v_add_f16_e32 v71, v71, v72
	v_fma_f16 v37, v33, s5, v39
	v_sub_f16_e32 v30, v35, v30
	v_fma_f16 v72, v71, s4, v51
	v_fma_f16 v35, v30, s6, v37
	v_sub_f16_e32 v37, v0, v1
	v_sub_f16_e32 v51, v3, v2
	v_fma_f16 v39, v33, s0, v39
	v_fma_f16 v26, v28, s6, v26
	v_add_f16_e32 v28, v44, v0
	v_add_f16_e32 v37, v37, v51
	v_fma_f16 v39, v30, s1, v39
	v_add_f16_e32 v28, v28, v1
	v_fma_f16 v35, v37, s4, v35
	v_fma_f16 v37, v37, s4, v39
	v_add_f16_e32 v39, v0, v3
	v_add_f16_e32 v28, v28, v2
	v_fma_f16 v39, v39, -0.5, v44
	v_add_f16_e32 v28, v28, v3
	v_fma_f16 v44, v30, s0, v39
	v_sub_f16_e32 v0, v1, v0
	v_sub_f16_e32 v1, v2, v3
	v_add_f16_e32 v3, v36, v31
	v_fma_f16 v44, v33, s6, v44
	v_add_f16_e32 v0, v0, v1
	v_fma_f16 v2, v30, s5, v39
	v_fma_f16 v3, v3, -0.5, v27
	v_sub_f16_e32 v30, v12, v15
	v_fma_f16 v1, v0, s4, v44
	v_fma_f16 v2, v33, s1, v2
	;; [unrolled: 1-line block ×3, first 2 shown]
	v_sub_f16_e32 v39, v13, v14
	v_sub_f16_e32 v44, v34, v36
	;; [unrolled: 1-line block ×3, first 2 shown]
	v_fma_f16 v3, v30, s5, v3
	v_add_f16_e32 v44, v44, v51
	v_fma_f16 v3, v39, s6, v3
	v_fma_f16 v51, v44, s4, v3
	v_add_f16_e32 v3, v34, v38
	v_fma_f16 v33, v39, s1, v33
	v_fma_f16 v3, v3, -0.5, v27
	v_lshrrev_b32_e32 v90, 16, v27
	v_fma_f16 v26, v71, s4, v26
	v_fma_f16 v0, v0, s4, v2
	v_add_f16_e32 v2, v27, v34
	v_fma_f16 v33, v44, s4, v33
	v_fma_f16 v27, v39, s5, v3
	v_sub_f16_e32 v44, v36, v34
	v_sub_f16_e32 v71, v31, v38
	v_fma_f16 v27, v30, s1, v27
	v_add_f16_e32 v44, v44, v71
	v_fma_f16 v71, v44, s4, v27
	v_add_f16_e32 v27, v90, v12
	v_add_f16_e32 v27, v27, v13
	v_fma_f16 v3, v39, s0, v3
	v_add_f16_e32 v27, v27, v14
	;; [unrolled: 3-line block ×3, first 2 shown]
	v_add_f16_e32 v27, v13, v14
	v_add_f16_e32 v2, v2, v31
	v_fma_f16 v27, v27, -0.5, v90
	v_sub_f16_e32 v34, v34, v38
	v_add_f16_e32 v2, v2, v38
	v_fma_f16 v38, v34, s5, v27
	v_sub_f16_e32 v31, v36, v31
	v_fma_f16 v36, v31, s6, v38
	v_sub_f16_e32 v38, v12, v13
	v_sub_f16_e32 v39, v15, v14
	v_fma_f16 v27, v34, s0, v27
	v_add_f16_e32 v38, v38, v39
	v_fma_f16 v27, v31, s1, v27
	v_fma_f16 v36, v38, s4, v36
	;; [unrolled: 1-line block ×3, first 2 shown]
	v_add_f16_e32 v38, v12, v15
	v_fma_f16 v38, v38, -0.5, v90
	v_fma_f16 v39, v31, s0, v38
	v_sub_f16_e32 v12, v13, v12
	v_sub_f16_e32 v13, v14, v15
	v_fma_f16 v14, v31, s5, v38
	v_fma_f16 v39, v34, s6, v39
	v_add_f16_e32 v12, v12, v13
	v_fma_f16 v14, v34, s1, v14
	v_pack_b32_f16 v5, v69, v5
	v_pack_b32_f16 v4, v25, v4
	v_fma_f16 v13, v12, s4, v39
	v_fma_f16 v12, v12, s4, v14
	s_waitcnt lgkmcnt(0)
	; wave barrier
	v_pack_b32_f16 v14, v40, v42
	v_pack_b32_f16 v15, v43, v29
	ds_write2_b32 v105, v5, v4 offset0:54 offset1:81
	v_pack_b32_f16 v4, v41, v70
	v_pack_b32_f16 v1, v72, v1
	;; [unrolled: 1-line block ×3, first 2 shown]
	ds_write2_b32 v105, v14, v15 offset1:27
	ds_write_b32 v105, v4 offset:432
	ds_write2_b32 v106, v1, v0 offset0:54 offset1:81
	v_pack_b32_f16 v0, v7, v37
	v_fma_f16 v3, v44, s4, v3
	v_pack_b32_f16 v4, v6, v28
	v_pack_b32_f16 v5, v32, v35
	ds_write_b32 v106, v0 offset:432
	v_pack_b32_f16 v0, v2, v30
	v_pack_b32_f16 v1, v33, v36
	ds_write2_b32 v106, v4, v5 offset1:27
	ds_write2_b32 v107, v0, v1 offset1:27
	v_pack_b32_f16 v0, v71, v13
	v_pack_b32_f16 v1, v3, v12
	ds_write2_b32 v107, v0, v1 offset0:54 offset1:81
	v_pack_b32_f16 v0, v51, v27
	ds_write_b32 v107, v0 offset:432
	s_waitcnt lgkmcnt(0)
	; wave barrier
	s_waitcnt lgkmcnt(0)
	ds_read2_b32 v[0:1], v73 offset1:63
	ds_read2_b32 v[25:26], v73 offset0:135 offset1:198
	ds_read2_b32 v[14:15], v67 offset0:14 offset1:77
	;; [unrolled: 1-line block ×6, first 2 shown]
	s_and_saveexec_b64 s[0:1], vcc
	s_cbranch_execz .LBB0_7
; %bb.6:
	v_add_u32_e32 v27, 0x100, v73
	ds_read2_b32 v[51:52], v27 offset0:62 offset1:197
	ds_read2_b32 v[53:54], v58 offset0:12 offset1:147
	;; [unrolled: 1-line block ×3, first 2 shown]
	ds_read_b32 v64, v73 offset:3744
	s_waitcnt lgkmcnt(3)
	v_lshrrev_b32_e32 v27, 16, v51
	v_lshrrev_b32_e32 v60, 16, v52
	s_waitcnt lgkmcnt(2)
	v_lshrrev_b32_e32 v59, 16, v53
	v_lshrrev_b32_e32 v62, 16, v54
	;; [unrolled: 3-line block ×3, first 2 shown]
	s_waitcnt lgkmcnt(0)
	v_lshrrev_b32_e32 v65, 16, v64
.LBB0_7:
	s_or_b64 exec, exec, s[0:1]
	s_waitcnt lgkmcnt(5)
	v_lshrrev_b32_e32 v28, 16, v25
	v_mul_f16_sdwa v40, v16, v28 dst_sel:DWORD dst_unused:UNUSED_PAD src0_sel:WORD_1 src1_sel:DWORD
	s_waitcnt lgkmcnt(4)
	v_lshrrev_b32_e32 v29, 16, v14
	v_fma_f16 v40, v16, v25, v40
	v_mul_f16_sdwa v25, v16, v25 dst_sel:DWORD dst_unused:UNUSED_PAD src0_sel:WORD_1 src1_sel:DWORD
	v_fma_f16 v16, v16, v28, -v25
	v_mul_f16_sdwa v25, v17, v29 dst_sel:DWORD dst_unused:UNUSED_PAD src0_sel:WORD_1 src1_sel:DWORD
	v_lshrrev_b32_e32 v34, 16, v26
	v_fma_f16 v25, v17, v14, v25
	v_mul_f16_sdwa v14, v17, v14 dst_sel:DWORD dst_unused:UNUSED_PAD src0_sel:WORD_1 src1_sel:DWORD
	s_waitcnt lgkmcnt(3)
	v_lshrrev_b32_e32 v30, 16, v12
	v_fma_f16 v14, v17, v29, -v14
	v_mul_f16_sdwa v29, v20, v34 dst_sel:DWORD dst_unused:UNUSED_PAD src0_sel:WORD_1 src1_sel:DWORD
	v_lshrrev_b32_e32 v35, 16, v15
	v_mul_f16_sdwa v17, v18, v30 dst_sel:DWORD dst_unused:UNUSED_PAD src0_sel:WORD_1 src1_sel:DWORD
	v_fma_f16 v29, v20, v26, v29
	v_mul_f16_sdwa v26, v20, v26 dst_sel:DWORD dst_unused:UNUSED_PAD src0_sel:WORD_1 src1_sel:DWORD
	s_waitcnt lgkmcnt(2)
	v_lshrrev_b32_e32 v31, 16, v6
	v_fma_f16 v17, v18, v12, v17
	v_mul_f16_sdwa v12, v18, v12 dst_sel:DWORD dst_unused:UNUSED_PAD src0_sel:WORD_1 src1_sel:DWORD
	v_fma_f16 v20, v20, v34, -v26
	v_mul_f16_sdwa v26, v21, v35 dst_sel:DWORD dst_unused:UNUSED_PAD src0_sel:WORD_1 src1_sel:DWORD
	v_lshrrev_b32_e32 v36, 16, v13
	v_fma_f16 v12, v18, v30, -v12
	v_mul_f16_sdwa v18, v19, v31 dst_sel:DWORD dst_unused:UNUSED_PAD src0_sel:WORD_1 src1_sel:DWORD
	v_fma_f16 v26, v21, v15, v26
	v_mul_f16_sdwa v15, v21, v15 dst_sel:DWORD dst_unused:UNUSED_PAD src0_sel:WORD_1 src1_sel:DWORD
	s_waitcnt lgkmcnt(1)
	v_lshrrev_b32_e32 v32, 16, v4
	s_waitcnt lgkmcnt(0)
	v_lshrrev_b32_e32 v33, 16, v2
	v_fma_f16 v18, v19, v6, v18
	v_mul_f16_sdwa v6, v19, v6 dst_sel:DWORD dst_unused:UNUSED_PAD src0_sel:WORD_1 src1_sel:DWORD
	v_fma_f16 v15, v21, v35, -v15
	v_mul_f16_sdwa v21, v22, v36 dst_sel:DWORD dst_unused:UNUSED_PAD src0_sel:WORD_1 src1_sel:DWORD
	v_lshrrev_b32_e32 v37, 16, v7
	v_fma_f16 v6, v19, v31, -v6
	v_mul_f16_sdwa v19, v47, v32 dst_sel:DWORD dst_unused:UNUSED_PAD src0_sel:WORD_1 src1_sel:DWORD
	v_mul_f16_sdwa v28, v48, v33 dst_sel:DWORD dst_unused:UNUSED_PAD src0_sel:WORD_1 src1_sel:DWORD
	v_fma_f16 v21, v22, v13, v21
	v_mul_f16_sdwa v13, v22, v13 dst_sel:DWORD dst_unused:UNUSED_PAD src0_sel:WORD_1 src1_sel:DWORD
	v_fma_f16 v19, v47, v4, v19
	;; [unrolled: 2-line block ×3, first 2 shown]
	v_mul_f16_sdwa v2, v48, v2 dst_sel:DWORD dst_unused:UNUSED_PAD src0_sel:WORD_1 src1_sel:DWORD
	v_fma_f16 v13, v22, v36, -v13
	v_mul_f16_sdwa v22, v23, v37 dst_sel:DWORD dst_unused:UNUSED_PAD src0_sel:WORD_1 src1_sel:DWORD
	v_lshrrev_b32_e32 v38, 16, v5
	v_lshrrev_b32_e32 v39, 16, v3
	v_fma_f16 v4, v47, v32, -v4
	v_fma_f16 v2, v48, v33, -v2
	v_fma_f16 v22, v23, v7, v22
	v_mul_f16_sdwa v7, v23, v7 dst_sel:DWORD dst_unused:UNUSED_PAD src0_sel:WORD_1 src1_sel:DWORD
	v_fma_f16 v7, v23, v37, -v7
	v_mul_f16_sdwa v23, v49, v38 dst_sel:DWORD dst_unused:UNUSED_PAD src0_sel:WORD_1 src1_sel:DWORD
	v_mul_f16_sdwa v30, v50, v39 dst_sel:DWORD dst_unused:UNUSED_PAD src0_sel:WORD_1 src1_sel:DWORD
	v_add_f16_e32 v31, v40, v28
	v_add_f16_e32 v32, v16, v2
	v_sub_f16_e32 v2, v16, v2
	v_add_f16_e32 v16, v25, v19
	v_add_f16_e32 v33, v14, v4
	v_fma_f16 v23, v49, v5, v23
	v_mul_f16_sdwa v5, v49, v5 dst_sel:DWORD dst_unused:UNUSED_PAD src0_sel:WORD_1 src1_sel:DWORD
	v_fma_f16 v30, v50, v3, v30
	v_mul_f16_sdwa v3, v50, v3 dst_sel:DWORD dst_unused:UNUSED_PAD src0_sel:WORD_1 src1_sel:DWORD
	v_sub_f16_e32 v28, v40, v28
	v_sub_f16_e32 v19, v25, v19
	;; [unrolled: 1-line block ×3, first 2 shown]
	v_add_f16_e32 v14, v17, v18
	v_add_f16_e32 v25, v12, v6
	v_sub_f16_e32 v17, v18, v17
	v_sub_f16_e32 v6, v6, v12
	v_add_f16_e32 v12, v16, v31
	v_add_f16_e32 v18, v33, v32
	v_fma_f16 v5, v49, v38, -v5
	v_fma_f16 v3, v50, v39, -v3
	v_sub_f16_e32 v34, v16, v31
	v_sub_f16_e32 v35, v33, v32
	;; [unrolled: 1-line block ×6, first 2 shown]
	v_add_f16_e32 v36, v17, v19
	v_add_f16_e32 v37, v6, v4
	v_sub_f16_e32 v38, v17, v19
	v_sub_f16_e32 v39, v6, v4
	;; [unrolled: 1-line block ×4, first 2 shown]
	v_add_f16_e32 v12, v14, v12
	v_add_f16_e32 v14, v25, v18
	v_sub_f16_e32 v17, v28, v17
	v_sub_f16_e32 v6, v2, v6
	v_add_f16_e32 v18, v36, v28
	v_add_f16_e32 v2, v37, v2
	;; [unrolled: 1-line block ×3, first 2 shown]
	v_add_f16_sdwa v0, v0, v14 dst_sel:DWORD dst_unused:UNUSED_PAD src0_sel:WORD_1 src1_sel:DWORD
	v_mul_f16_e32 v28, 0x3a52, v31
	v_mul_f16_e32 v31, 0x3a52, v32
	s_movk_i32 s13, 0x2b26
	v_mul_f16_e32 v32, 0x2b26, v16
	v_mul_f16_e32 v36, 0x2b26, v33
	;; [unrolled: 1-line block ×4, first 2 shown]
	s_mov_b32 s4, 0xbb00
	v_mul_f16_e32 v39, 0xbb00, v19
	v_mul_f16_e32 v40, 0xbb00, v4
	s_mov_b32 s14, 0xbcab
	s_movk_i32 s5, 0x39e0
	s_mov_b32 s6, 0xb9e0
	s_mov_b32 s15, 0xb574
	v_fma_f16 v12, v12, s14, v25
	v_fma_f16 v14, v14, s14, v0
	;; [unrolled: 1-line block ×4, first 2 shown]
	v_fma_f16 v32, v34, s5, -v32
	v_fma_f16 v36, v35, s5, -v36
	;; [unrolled: 1-line block ×4, first 2 shown]
	v_fma_f16 v34, v17, s15, v37
	v_fma_f16 v35, v6, s15, v38
	v_fma_f16 v4, v4, s4, -v38
	v_fma_f16 v17, v17, s7, -v39
	;; [unrolled: 1-line block ×3, first 2 shown]
	s_mov_b32 s12, 0xb70e
	v_fma_f16 v19, v19, s4, -v37
	v_add_f16_e32 v16, v16, v12
	v_add_f16_e32 v33, v33, v14
	;; [unrolled: 1-line block ×6, first 2 shown]
	v_fma_f16 v28, v18, s12, v34
	v_fma_f16 v31, v2, s12, v35
	;; [unrolled: 1-line block ×6, first 2 shown]
	v_add_f16_e32 v6, v31, v16
	v_sub_f16_e32 v18, v33, v28
	v_add_f16_e32 v34, v2, v12
	v_sub_f16_e32 v35, v14, v17
	v_sub_f16_e32 v2, v12, v2
	v_add_f16_e32 v12, v17, v14
	v_sub_f16_e32 v14, v16, v31
	v_add_f16_e32 v16, v28, v33
	v_add_f16_e32 v17, v29, v30
	;; [unrolled: 1-line block ×3, first 2 shown]
	v_sub_f16_e32 v29, v29, v30
	v_sub_f16_e32 v3, v20, v3
	v_add_f16_e32 v20, v26, v23
	v_add_f16_e32 v30, v15, v5
	v_sub_f16_e32 v23, v26, v23
	v_sub_f16_e32 v5, v15, v5
	v_add_f16_e32 v15, v21, v22
	v_add_f16_e32 v26, v13, v7
	;; [unrolled: 4-line block ×3, first 2 shown]
	v_sub_f16_e32 v37, v32, v4
	v_add_f16_e32 v38, v19, v36
	v_add_f16_e32 v4, v4, v32
	v_sub_f16_e32 v19, v36, v19
	v_sub_f16_e32 v31, v20, v17
	;; [unrolled: 1-line block ×7, first 2 shown]
	v_add_f16_e32 v33, v21, v23
	v_add_f16_e32 v36, v7, v5
	v_sub_f16_e32 v39, v21, v23
	v_sub_f16_e32 v40, v7, v5
	v_add_f16_e32 v13, v15, v13
	v_add_f16_e32 v15, v26, v22
	v_sub_f16_e32 v21, v29, v21
	v_sub_f16_e32 v7, v3, v7
	;; [unrolled: 1-line block ×4, first 2 shown]
	v_add_f16_e32 v22, v33, v29
	v_add_f16_e32 v3, v36, v3
	;; [unrolled: 1-line block ×3, first 2 shown]
	v_add_f16_sdwa v1, v1, v15 dst_sel:DWORD dst_unused:UNUSED_PAD src0_sel:WORD_1 src1_sel:DWORD
	v_mul_f16_e32 v17, 0x3a52, v17
	v_mul_f16_e32 v28, 0x3a52, v28
	;; [unrolled: 1-line block ×8, first 2 shown]
	v_fma_f16 v13, v13, s14, v26
	v_fma_f16 v15, v15, s14, v1
	;; [unrolled: 1-line block ×4, first 2 shown]
	v_fma_f16 v29, v31, s5, -v29
	v_fma_f16 v33, v32, s5, -v33
	;; [unrolled: 1-line block ×4, first 2 shown]
	v_fma_f16 v31, v21, s15, v36
	v_fma_f16 v32, v7, s15, v39
	v_pack_b32_f16 v6, v6, v18
	v_fma_f16 v23, v23, s4, -v36
	v_fma_f16 v5, v5, s4, -v39
	;; [unrolled: 1-line block ×4, first 2 shown]
	v_add_f16_e32 v20, v20, v13
	v_add_f16_e32 v30, v30, v15
	;; [unrolled: 1-line block ×6, first 2 shown]
	v_fma_f16 v17, v22, s12, v31
	v_fma_f16 v28, v3, s12, v32
	ds_write_b32 v73, v6 offset:540
	v_pack_b32_f16 v6, v34, v35
	v_pack_b32_f16 v2, v2, v12
	v_fma_f16 v23, v22, s12, v23
	v_fma_f16 v5, v3, s12, v5
	;; [unrolled: 1-line block ×4, first 2 shown]
	v_add_f16_e32 v7, v28, v20
	v_sub_f16_e32 v22, v30, v17
	v_pack_b32_f16 v0, v25, v0
	ds_write_b32 v73, v6 offset:1080
	v_pack_b32_f16 v6, v37, v38
	v_pack_b32_f16 v4, v4, v19
	ds_write_b32 v73, v2 offset:2700
	v_pack_b32_f16 v2, v14, v16
	v_pack_b32_f16 v1, v26, v1
	v_add_f16_e32 v31, v3, v13
	v_sub_f16_e32 v32, v15, v21
	ds_write_b32 v73, v6 offset:1620
	ds_write_b32 v73, v4 offset:2160
	;; [unrolled: 1-line block ×3, first 2 shown]
	ds_write2_b32 v73, v0, v1 offset1:63
	v_pack_b32_f16 v0, v7, v22
	v_sub_f16_e32 v36, v29, v5
	v_add_f16_e32 v39, v23, v33
	ds_write_b32 v73, v0 offset:792
	v_pack_b32_f16 v0, v31, v32
	v_add_f16_e32 v5, v5, v29
	v_sub_f16_e32 v23, v33, v23
	ds_write_b32 v73, v0 offset:1332
	v_pack_b32_f16 v0, v36, v39
	v_sub_f16_e32 v3, v13, v3
	v_add_f16_e32 v13, v21, v15
	ds_write_b32 v73, v0 offset:1872
	v_pack_b32_f16 v0, v5, v23
	v_sub_f16_e32 v15, v20, v28
	v_add_f16_e32 v17, v17, v30
	ds_write_b32 v73, v0 offset:2412
	v_pack_b32_f16 v0, v3, v13
	ds_write_b32 v73, v0 offset:2952
	v_pack_b32_f16 v0, v15, v17
	ds_write_b32 v73, v0 offset:3492
	s_and_saveexec_b64 s[0:1], vcc
	s_cbranch_execz .LBB0_9
; %bb.8:
	v_mul_f16_sdwa v0, v8, v60 dst_sel:DWORD dst_unused:UNUSED_PAD src0_sel:WORD_1 src1_sel:DWORD
	v_mul_f16_sdwa v4, v10, v62 dst_sel:DWORD dst_unused:UNUSED_PAD src0_sel:WORD_1 src1_sel:DWORD
	;; [unrolled: 1-line block ×8, first 2 shown]
	v_fma_f16 v0, v8, v52, v0
	v_mul_f16_sdwa v1, v46, v65 dst_sel:DWORD dst_unused:UNUSED_PAD src0_sel:WORD_1 src1_sel:DWORD
	v_mul_f16_sdwa v3, v11, v63 dst_sel:DWORD dst_unused:UNUSED_PAD src0_sel:WORD_1 src1_sel:DWORD
	v_fma_f16 v4, v10, v54, v4
	v_fma_f16 v7, v9, v53, v7
	v_mul_f16_sdwa v12, v45, v61 dst_sel:DWORD dst_unused:UNUSED_PAD src0_sel:WORD_1 src1_sel:DWORD
	v_fma_f16 v16, v46, v65, -v16
	v_fma_f16 v8, v8, v60, -v17
	;; [unrolled: 1-line block ×3, first 2 shown]
	v_mul_f16_sdwa v18, v11, v55 dst_sel:DWORD dst_unused:UNUSED_PAD src0_sel:WORD_1 src1_sel:DWORD
	v_fma_f16 v20, v45, v61, -v20
	v_fma_f16 v9, v9, v59, -v21
	v_fma_f16 v1, v46, v64, v1
	v_fma_f16 v3, v11, v55, v3
	;; [unrolled: 1-line block ×3, first 2 shown]
	v_add_f16_e32 v17, v16, v8
	v_fma_f16 v11, v11, v63, -v18
	v_add_f16_e32 v21, v20, v9
	v_sub_f16_e32 v2, v0, v1
	v_sub_f16_e32 v5, v3, v4
	;; [unrolled: 1-line block ×3, first 2 shown]
	v_add_f16_e32 v18, v10, v11
	v_add_f16_e32 v25, v21, v17
	v_sub_f16_e32 v6, v2, v5
	v_sub_f16_e32 v14, v5, v13
	v_add_f16_e32 v5, v5, v13
	v_sub_f16_e32 v19, v17, v18
	v_sub_f16_e32 v22, v18, v21
	v_add_f16_e32 v18, v18, v25
	v_add_f16_e32 v0, v1, v0
	;; [unrolled: 1-line block ×7, first 2 shown]
	v_sub_f16_e32 v8, v8, v16
	v_sub_f16_e32 v10, v11, v10
	;; [unrolled: 1-line block ×4, first 2 shown]
	v_mul_f16_e32 v14, 0x3846, v14
	v_sub_f16_e32 v3, v0, v1
	v_sub_f16_e32 v7, v1, v4
	v_add_f16_e32 v1, v1, v27
	v_sub_f16_e32 v11, v8, v10
	v_sub_f16_e32 v16, v10, v9
	v_add_f16_e32 v10, v10, v9
	v_mul_f16_e32 v13, 0xbb00, v2
	v_sub_f16_e32 v0, v4, v0
	v_sub_f16_e32 v4, v9, v8
	v_fma_f16 v15, v6, s15, v14
	v_mul_f16_e32 v19, 0x3a52, v19
	v_mul_f16_e32 v23, 0x2b26, v22
	;; [unrolled: 1-line block ×4, first 2 shown]
	v_add_f16_e32 v27, v51, v1
	v_mul_f16_e32 v16, 0x3846, v16
	v_add_f16_e32 v10, v10, v8
	v_fma_f16 v6, v6, s7, -v13
	v_sub_f16_e32 v13, v21, v17
	v_mul_f16_e32 v8, 0xbb00, v4
	v_fma_f16 v22, v22, s13, v19
	v_fma_f16 v18, v18, s14, v25
	;; [unrolled: 1-line block ×5, first 2 shown]
	v_fma_f16 v17, v13, s6, -v19
	v_fma_f16 v3, v0, s6, -v3
	;; [unrolled: 1-line block ×7, first 2 shown]
	v_fma_f16 v15, v5, s12, v15
	v_add_f16_e32 v22, v22, v18
	v_add_f16_e32 v7, v7, v1
	v_fma_f16 v20, v10, s12, v20
	v_fma_f16 v6, v5, s12, v6
	v_add_f16_e32 v17, v17, v18
	v_add_f16_e32 v3, v3, v1
	v_fma_f16 v8, v10, s12, v8
	v_add_f16_e32 v11, v11, v18
	v_fma_f16 v2, v5, s12, v2
	v_fma_f16 v4, v10, s12, v4
	v_add_f16_e32 v0, v0, v1
	v_sub_f16_e32 v28, v7, v20
	v_add_f16_e32 v19, v6, v17
	v_sub_f16_e32 v9, v3, v8
	v_sub_f16_e32 v5, v11, v2
	v_add_f16_e32 v1, v4, v0
	v_add_f16_e32 v2, v2, v11
	v_sub_f16_e32 v0, v0, v4
	v_sub_f16_e32 v4, v17, v6
	v_add_f16_e32 v3, v8, v3
	v_sub_f16_e32 v6, v22, v15
	v_add_f16_e32 v7, v20, v7
	v_pack_b32_f16 v8, v27, v25
	v_pack_b32_f16 v6, v7, v6
	v_add_u32_e32 v7, 0x100, v73
	v_pack_b32_f16 v3, v3, v4
	v_pack_b32_f16 v0, v0, v2
	v_add_u32_e32 v2, 0x600, v73
	v_add_f16_e32 v26, v15, v22
	ds_write2_b32 v7, v8, v6 offset0:62 offset1:197
	ds_write2_b32 v2, v3, v0 offset0:12 offset1:147
	v_pack_b32_f16 v0, v1, v5
	v_pack_b32_f16 v1, v9, v19
	v_add_u32_e32 v2, 0xa00, v73
	ds_write2_b32 v2, v0, v1 offset0:26 offset1:161
	v_pack_b32_f16 v0, v28, v26
	ds_write_b32 v73, v0 offset:3744
.LBB0_9:
	s_or_b64 exec, exec, s[0:1]
	s_waitcnt lgkmcnt(0)
	; wave barrier
	s_waitcnt lgkmcnt(0)
	ds_read2_b32 v[2:3], v73 offset1:63
	s_mov_b32 s4, 0xbc011567
	s_mov_b32 s5, 0x3f51566a
	v_mad_u64_u32 v[4:5], s[0:1], s10, v24, 0
	s_waitcnt lgkmcnt(0)
	v_lshrrev_b32_e32 v7, 16, v2
	v_mul_f16_sdwa v0, v89, v7 dst_sel:DWORD dst_unused:UNUSED_PAD src0_sel:WORD_1 src1_sel:DWORD
	v_fma_f16 v0, v89, v2, v0
	v_cvt_f32_f16_e32 v0, v0
	s_movk_i32 s6, 0x1ff
	v_mad_u64_u32 v[5:6], s[0:1], s11, v24, v[5:6]
	v_cvt_f64_f32_e32 v[0:1], v0
	s_movk_i32 s7, 0xffe
	v_mul_f16_sdwa v2, v89, v2 dst_sel:DWORD dst_unused:UNUSED_PAD src0_sel:WORD_1 src1_sel:DWORD
	v_fma_f16 v2, v89, v7, -v2
	v_mul_f64 v[0:1], v[0:1], s[4:5]
	v_cvt_f32_f16_e32 v7, v2
	v_mov_b32_e32 v2, 0x7c00
	s_movk_i32 s10, 0x40f
	s_mov_b32 s11, 0x8000
	v_lshlrev_b64 v[4:5], 2, v[4:5]
	v_and_or_b32 v0, v1, s6, v0
	v_cmp_ne_u32_e32 vcc, 0, v0
	v_lshrrev_b32_e32 v6, 8, v1
	v_bfe_u32 v8, v1, 20, 11
	v_cndmask_b32_e64 v0, 0, 1, vcc
	v_sub_u32_e32 v9, 0x3f1, v8
	v_and_or_b32 v0, v6, s7, v0
	v_or_b32_e32 v6, 0x1000, v0
	v_med3_i32 v9, v9, 0, 13
	v_lshrrev_b32_e32 v10, v9, v6
	v_lshlrev_b32_e32 v9, v9, v10
	v_cmp_ne_u32_e32 vcc, v9, v6
	v_cndmask_b32_e64 v6, 0, 1, vcc
	v_add_u32_e32 v8, 0xfffffc10, v8
	v_or_b32_e32 v6, v10, v6
	v_lshl_or_b32 v9, v8, 12, v0
	v_cmp_gt_i32_e32 vcc, 1, v8
	v_cndmask_b32_e32 v6, v9, v6, vcc
	v_and_b32_e32 v9, 7, v6
	v_cmp_lt_i32_e32 vcc, 5, v9
	v_cmp_eq_u32_e64 s[0:1], 3, v9
	v_lshrrev_b32_e32 v6, 2, v6
	s_or_b64 vcc, s[0:1], vcc
	v_addc_co_u32_e32 v9, vcc, 0, v6, vcc
	v_cvt_f64_f32_e32 v[6:7], v7
	v_cmp_gt_i32_e32 vcc, 31, v8
	v_cndmask_b32_e32 v9, v2, v9, vcc
	v_cmp_ne_u32_e32 vcc, 0, v0
	v_mul_f64 v[6:7], v[6:7], s[4:5]
	v_cndmask_b32_e64 v0, 0, 1, vcc
	v_lshl_or_b32 v0, v0, 9, v2
	v_cmp_eq_u32_e32 vcc, s10, v8
	v_cndmask_b32_e32 v0, v9, v0, vcc
	v_lshrrev_b32_e32 v1, 16, v1
	v_and_or_b32 v9, v1, s11, v0
	v_and_b32_e32 v12, 0xffff, v9
	v_and_or_b32 v0, v7, s6, v6
	v_cmp_ne_u32_e32 vcc, 0, v0
	v_cndmask_b32_e64 v0, 0, 1, vcc
	v_lshrrev_b32_e32 v1, 8, v7
	v_bfe_u32 v6, v7, 20, 11
	v_and_or_b32 v0, v1, s7, v0
	v_sub_u32_e32 v8, 0x3f1, v6
	v_or_b32_e32 v1, 0x1000, v0
	v_med3_i32 v8, v8, 0, 13
	v_lshrrev_b32_e32 v10, v8, v1
	v_lshlrev_b32_e32 v8, v8, v10
	v_cmp_ne_u32_e32 vcc, v8, v1
	v_cndmask_b32_e64 v1, 0, 1, vcc
	v_add_u32_e32 v6, 0xfffffc10, v6
	v_or_b32_e32 v1, v10, v1
	v_lshl_or_b32 v8, v6, 12, v0
	v_cmp_gt_i32_e32 vcc, 1, v6
	v_cndmask_b32_e32 v1, v8, v1, vcc
	v_and_b32_e32 v8, 7, v1
	v_cmp_lt_i32_e32 vcc, 5, v8
	v_cmp_eq_u32_e64 s[0:1], 3, v8
	v_lshrrev_b32_e32 v1, 2, v1
	s_or_b64 vcc, s[0:1], vcc
	v_addc_co_u32_e32 v1, vcc, 0, v1, vcc
	v_cmp_gt_i32_e32 vcc, 31, v6
	v_cndmask_b32_e32 v1, v2, v1, vcc
	v_cmp_ne_u32_e32 vcc, 0, v0
	v_cndmask_b32_e64 v0, 0, 1, vcc
	v_lshl_or_b32 v0, v0, 9, v2
	v_cmp_eq_u32_e32 vcc, s10, v6
	v_cndmask_b32_e32 v8, v1, v0, vcc
	v_add_u32_e32 v0, 0x200, v73
	ds_read2_b32 v[0:1], v0 offset0:124 offset1:187
	v_lshrrev_b32_e32 v10, 16, v7
	v_mad_u64_u32 v[6:7], s[0:1], s8, v88, 0
	v_and_or_b32 v10, v10, s11, v8
	s_waitcnt lgkmcnt(0)
	v_lshrrev_b32_e32 v11, 16, v1
	v_mad_u64_u32 v[7:8], s[0:1], s9, v88, v[7:8]
	v_mul_f16_sdwa v8, v87, v11 dst_sel:DWORD dst_unused:UNUSED_PAD src0_sel:WORD_1 src1_sel:DWORD
	v_fma_f16 v8, v87, v1, v8
	v_cvt_f32_f16_e32 v8, v8
	v_lshl_or_b32 v10, v10, 16, v12
	v_mov_b32_e32 v12, s3
	v_add_co_u32_e32 v13, vcc, s2, v4
	v_cvt_f64_f32_e32 v[8:9], v8
	v_addc_co_u32_e32 v12, vcc, v12, v5, vcc
	v_lshlrev_b64 v[4:5], 2, v[6:7]
	v_mul_f64 v[8:9], v[8:9], s[4:5]
	v_add_co_u32_e32 v4, vcc, v13, v4
	v_addc_co_u32_e32 v5, vcc, v12, v5, vcc
	global_store_dword v[4:5], v10, off
	v_mul_f16_sdwa v1, v87, v1 dst_sel:DWORD dst_unused:UNUSED_PAD src0_sel:WORD_1 src1_sel:DWORD
	v_fma_f16 v1, v87, v11, -v1
	v_and_or_b32 v6, v9, s6, v8
	v_cmp_ne_u32_e32 vcc, 0, v6
	v_cndmask_b32_e64 v6, 0, 1, vcc
	v_lshrrev_b32_e32 v7, 8, v9
	v_and_or_b32 v8, v7, s7, v6
	v_bfe_u32 v7, v9, 20, 11
	v_sub_u32_e32 v10, 0x3f1, v7
	v_or_b32_e32 v6, 0x1000, v8
	v_med3_i32 v10, v10, 0, 13
	v_lshrrev_b32_e32 v12, v10, v6
	v_lshlrev_b32_e32 v10, v10, v12
	v_cmp_ne_u32_e32 vcc, v10, v6
	v_cndmask_b32_e64 v6, 0, 1, vcc
	v_add_u32_e32 v10, 0xfffffc10, v7
	v_cvt_f32_f16_e32 v1, v1
	v_or_b32_e32 v6, v12, v6
	v_lshl_or_b32 v7, v10, 12, v8
	v_cmp_gt_i32_e32 vcc, 1, v10
	v_cndmask_b32_e32 v6, v7, v6, vcc
	v_and_b32_e32 v7, 7, v6
	v_cmp_lt_i32_e32 vcc, 5, v7
	v_cmp_eq_u32_e64 s[0:1], 3, v7
	v_lshrrev_b32_e32 v11, 2, v6
	v_cvt_f64_f32_e32 v[6:7], v1
	s_or_b64 vcc, s[0:1], vcc
	v_addc_co_u32_e32 v1, vcc, 0, v11, vcc
	v_mul_f64 v[6:7], v[6:7], s[4:5]
	v_cmp_gt_i32_e32 vcc, 31, v10
	v_cndmask_b32_e32 v1, v2, v1, vcc
	v_cmp_ne_u32_e32 vcc, 0, v8
	v_cndmask_b32_e64 v8, 0, 1, vcc
	v_lshl_or_b32 v8, v8, 9, v2
	v_cmp_eq_u32_e32 vcc, s10, v10
	v_cndmask_b32_e32 v1, v1, v8, vcc
	v_and_or_b32 v6, v7, s6, v6
	v_lshrrev_b32_e32 v8, 16, v9
	v_cmp_ne_u32_e32 vcc, 0, v6
	v_and_or_b32 v1, v8, s11, v1
	v_cndmask_b32_e64 v6, 0, 1, vcc
	v_lshrrev_b32_e32 v8, 8, v7
	v_bfe_u32 v9, v7, 20, 11
	v_and_or_b32 v6, v8, s7, v6
	v_sub_u32_e32 v10, 0x3f1, v9
	v_or_b32_e32 v8, 0x1000, v6
	v_med3_i32 v10, v10, 0, 13
	v_lshrrev_b32_e32 v11, v10, v8
	v_lshlrev_b32_e32 v10, v10, v11
	v_cmp_ne_u32_e32 vcc, v10, v8
	v_cndmask_b32_e64 v8, 0, 1, vcc
	v_add_u32_e32 v10, 0xfffffc10, v9
	v_or_b32_e32 v8, v11, v8
	v_lshl_or_b32 v9, v10, 12, v6
	v_cmp_gt_i32_e32 vcc, 1, v10
	v_cndmask_b32_e32 v8, v9, v8, vcc
	v_and_b32_e32 v9, 7, v8
	v_cmp_lt_i32_e32 vcc, 5, v9
	v_cmp_eq_u32_e64 s[0:1], 3, v9
	v_lshrrev_b32_e32 v8, 2, v8
	s_or_b64 vcc, s[0:1], vcc
	v_addc_co_u32_e32 v8, vcc, 0, v8, vcc
	v_cmp_gt_i32_e32 vcc, 31, v10
	v_cndmask_b32_e32 v11, v2, v8, vcc
	v_add_u32_e32 v8, 0x800, v73
	ds_read2_b32 v[8:9], v8 offset0:118 offset1:181
	v_cmp_ne_u32_e32 vcc, 0, v6
	v_cndmask_b32_e64 v6, 0, 1, vcc
	v_lshl_or_b32 v6, v6, 9, v2
	v_cmp_eq_u32_e32 vcc, s10, v10
	s_waitcnt lgkmcnt(0)
	v_lshrrev_b32_e32 v10, 16, v8
	v_cndmask_b32_e32 v6, v11, v6, vcc
	v_mul_f16_sdwa v11, v86, v10 dst_sel:DWORD dst_unused:UNUSED_PAD src0_sel:WORD_1 src1_sel:DWORD
	v_fma_f16 v11, v86, v8, v11
	v_cvt_f32_f16_e32 v11, v11
	v_lshrrev_b32_e32 v7, 16, v7
	v_and_or_b32 v6, v7, s11, v6
	v_and_b32_e32 v1, 0xffff, v1
	v_lshl_or_b32 v1, v6, 16, v1
	v_cvt_f64_f32_e32 v[6:7], v11
	s_mul_i32 s0, s9, 0x4ec
	s_mul_hi_u32 s2, s8, 0x4ec
	s_add_i32 s2, s2, s0
	v_mul_f64 v[6:7], v[6:7], s[4:5]
	s_mul_i32 s3, s8, 0x4ec
	v_mov_b32_e32 v11, s2
	v_add_co_u32_e32 v4, vcc, s3, v4
	v_addc_co_u32_e32 v5, vcc, v5, v11, vcc
	global_store_dword v[4:5], v1, off
	v_and_or_b32 v1, v7, s6, v6
	v_cmp_ne_u32_e32 vcc, 0, v1
	v_cndmask_b32_e64 v1, 0, 1, vcc
	v_lshrrev_b32_e32 v6, 8, v7
	v_bfe_u32 v11, v7, 20, 11
	v_and_or_b32 v1, v6, s7, v1
	v_sub_u32_e32 v12, 0x3f1, v11
	v_or_b32_e32 v6, 0x1000, v1
	v_med3_i32 v12, v12, 0, 13
	v_lshrrev_b32_e32 v13, v12, v6
	v_lshlrev_b32_e32 v12, v12, v13
	v_mul_f16_sdwa v8, v86, v8 dst_sel:DWORD dst_unused:UNUSED_PAD src0_sel:WORD_1 src1_sel:DWORD
	v_cmp_ne_u32_e32 vcc, v12, v6
	v_fma_f16 v8, v86, v10, -v8
	v_cndmask_b32_e64 v6, 0, 1, vcc
	v_add_u32_e32 v12, 0xfffffc10, v11
	v_cvt_f32_f16_e32 v8, v8
	v_or_b32_e32 v6, v13, v6
	v_lshl_or_b32 v11, v12, 12, v1
	v_cmp_gt_i32_e32 vcc, 1, v12
	v_cndmask_b32_e32 v6, v11, v6, vcc
	v_and_b32_e32 v11, 7, v6
	v_cmp_lt_i32_e32 vcc, 5, v11
	v_cmp_eq_u32_e64 s[0:1], 3, v11
	v_cvt_f64_f32_e32 v[10:11], v8
	v_lshrrev_b32_e32 v6, 2, v6
	s_or_b64 vcc, s[0:1], vcc
	v_addc_co_u32_e32 v6, vcc, 0, v6, vcc
	v_mul_f64 v[10:11], v[10:11], s[4:5]
	v_cmp_gt_i32_e32 vcc, 31, v12
	v_cndmask_b32_e32 v6, v2, v6, vcc
	v_cmp_ne_u32_e32 vcc, 0, v1
	v_cndmask_b32_e64 v1, 0, 1, vcc
	v_lshl_or_b32 v1, v1, 9, v2
	v_cmp_eq_u32_e32 vcc, s10, v12
	v_cndmask_b32_e32 v1, v6, v1, vcc
	v_lshrrev_b32_e32 v6, 16, v7
	v_and_or_b32 v1, v6, s11, v1
	v_and_or_b32 v6, v11, s6, v10
	v_cmp_ne_u32_e32 vcc, 0, v6
	v_cndmask_b32_e64 v6, 0, 1, vcc
	v_lshrrev_b32_e32 v7, 8, v11
	v_bfe_u32 v8, v11, 20, 11
	v_and_or_b32 v6, v7, s7, v6
	v_sub_u32_e32 v10, 0x3f1, v8
	v_or_b32_e32 v7, 0x1000, v6
	v_med3_i32 v10, v10, 0, 13
	v_lshrrev_b32_e32 v12, v10, v7
	v_lshlrev_b32_e32 v10, v10, v12
	v_cmp_ne_u32_e32 vcc, v10, v7
	v_cndmask_b32_e64 v7, 0, 1, vcc
	v_add_u32_e32 v8, 0xfffffc10, v8
	v_or_b32_e32 v7, v12, v7
	v_lshl_or_b32 v10, v8, 12, v6
	v_cmp_gt_i32_e32 vcc, 1, v8
	v_cndmask_b32_e32 v7, v10, v7, vcc
	v_and_b32_e32 v10, 7, v7
	v_cmp_lt_i32_e32 vcc, 5, v10
	v_cmp_eq_u32_e64 s[0:1], 3, v10
	v_lshrrev_b32_e32 v10, 16, v3
	v_lshrrev_b32_e32 v7, 2, v7
	s_or_b64 vcc, s[0:1], vcc
	v_mul_f16_sdwa v12, v85, v10 dst_sel:DWORD dst_unused:UNUSED_PAD src0_sel:WORD_1 src1_sel:DWORD
	v_addc_co_u32_e32 v7, vcc, 0, v7, vcc
	v_fma_f16 v12, v85, v3, v12
	v_cmp_gt_i32_e32 vcc, 31, v8
	v_cvt_f32_f16_e32 v12, v12
	v_cndmask_b32_e32 v7, v2, v7, vcc
	v_cmp_ne_u32_e32 vcc, 0, v6
	v_cndmask_b32_e64 v6, 0, 1, vcc
	v_lshl_or_b32 v6, v6, 9, v2
	v_cmp_eq_u32_e32 vcc, s10, v8
	v_cndmask_b32_e32 v8, v7, v6, vcc
	v_cvt_f64_f32_e32 v[6:7], v12
	v_lshrrev_b32_e32 v11, 16, v11
	v_and_or_b32 v8, v11, s11, v8
	v_and_b32_e32 v1, 0xffff, v1
	v_mul_f64 v[6:7], v[6:7], s[4:5]
	v_lshl_or_b32 v1, v8, 16, v1
	v_mov_b32_e32 v8, s2
	v_add_co_u32_e32 v4, vcc, s3, v4
	v_addc_co_u32_e32 v5, vcc, v5, v8, vcc
	global_store_dword v[4:5], v1, off
	v_and_or_b32 v1, v7, s6, v6
	v_cmp_ne_u32_e32 vcc, 0, v1
	v_cndmask_b32_e64 v1, 0, 1, vcc
	v_lshrrev_b32_e32 v6, 8, v7
	v_bfe_u32 v8, v7, 20, 11
	v_and_or_b32 v1, v6, s7, v1
	v_sub_u32_e32 v11, 0x3f1, v8
	v_or_b32_e32 v6, 0x1000, v1
	v_med3_i32 v11, v11, 0, 13
	v_lshrrev_b32_e32 v12, v11, v6
	v_lshlrev_b32_e32 v11, v11, v12
	v_mul_f16_sdwa v3, v85, v3 dst_sel:DWORD dst_unused:UNUSED_PAD src0_sel:WORD_1 src1_sel:DWORD
	v_cmp_ne_u32_e32 vcc, v11, v6
	v_fma_f16 v3, v85, v10, -v3
	v_cndmask_b32_e64 v6, 0, 1, vcc
	v_add_u32_e32 v8, 0xfffffc10, v8
	v_cvt_f32_f16_e32 v3, v3
	v_or_b32_e32 v6, v12, v6
	v_lshl_or_b32 v11, v8, 12, v1
	v_cmp_gt_i32_e32 vcc, 1, v8
	v_cndmask_b32_e32 v6, v11, v6, vcc
	v_and_b32_e32 v11, 7, v6
	v_cmp_lt_i32_e32 vcc, 5, v11
	v_cmp_eq_u32_e64 s[0:1], 3, v11
	v_cvt_f64_f32_e32 v[10:11], v3
	v_lshrrev_b32_e32 v6, 2, v6
	s_or_b64 vcc, s[0:1], vcc
	v_addc_co_u32_e32 v3, vcc, 0, v6, vcc
	v_mul_f64 v[10:11], v[10:11], s[4:5]
	v_cmp_gt_i32_e32 vcc, 31, v8
	v_cndmask_b32_e32 v3, v2, v3, vcc
	v_cmp_ne_u32_e32 vcc, 0, v1
	v_cndmask_b32_e64 v1, 0, 1, vcc
	v_lshl_or_b32 v1, v1, 9, v2
	v_cmp_eq_u32_e32 vcc, s10, v8
	v_cndmask_b32_e32 v1, v3, v1, vcc
	v_lshrrev_b32_e32 v3, 16, v7
	v_and_or_b32 v1, v3, s11, v1
	v_and_or_b32 v3, v11, s6, v10
	v_cmp_ne_u32_e32 vcc, 0, v3
	v_cndmask_b32_e64 v3, 0, 1, vcc
	v_lshrrev_b32_e32 v6, 8, v11
	v_bfe_u32 v7, v11, 20, 11
	v_and_or_b32 v3, v6, s7, v3
	v_sub_u32_e32 v8, 0x3f1, v7
	v_or_b32_e32 v6, 0x1000, v3
	v_med3_i32 v8, v8, 0, 13
	v_lshrrev_b32_e32 v10, v8, v6
	v_lshlrev_b32_e32 v8, v8, v10
	v_cmp_ne_u32_e32 vcc, v8, v6
	v_cndmask_b32_e64 v6, 0, 1, vcc
	v_add_u32_e32 v8, 0xfffffc10, v7
	v_or_b32_e32 v6, v10, v6
	v_lshl_or_b32 v7, v8, 12, v3
	v_cmp_gt_i32_e32 vcc, 1, v8
	v_cndmask_b32_e32 v6, v7, v6, vcc
	v_and_b32_e32 v7, 7, v6
	v_cmp_lt_i32_e32 vcc, 5, v7
	v_cmp_eq_u32_e64 s[0:1], 3, v7
	v_lshrrev_b32_e32 v6, 2, v6
	s_or_b64 vcc, s[0:1], vcc
	v_addc_co_u32_e32 v6, vcc, 0, v6, vcc
	v_cmp_gt_i32_e32 vcc, 31, v8
	v_cndmask_b32_e32 v10, v2, v6, vcc
	v_add_u32_e32 v6, 0x400, v73
	ds_read2_b32 v[6:7], v6 offset0:122 offset1:185
	v_cmp_ne_u32_e32 vcc, 0, v3
	v_cndmask_b32_e64 v3, 0, 1, vcc
	v_lshl_or_b32 v3, v3, 9, v2
	v_cmp_eq_u32_e32 vcc, s10, v8
	v_cndmask_b32_e32 v3, v10, v3, vcc
	v_lshrrev_b32_e32 v8, 16, v11
	v_and_or_b32 v3, v8, s11, v3
	s_waitcnt lgkmcnt(0)
	v_lshrrev_b32_e32 v8, 16, v6
	v_mul_f16_sdwa v10, v84, v8 dst_sel:DWORD dst_unused:UNUSED_PAD src0_sel:WORD_1 src1_sel:DWORD
	v_fma_f16 v10, v84, v6, v10
	v_cvt_f32_f16_e32 v10, v10
	s_mul_hi_u32 s1, s8, 0xfffff724
	s_mul_i32 s0, s9, 0xfffff724
	s_sub_i32 s9, s1, s8
	v_cvt_f64_f32_e32 v[10:11], v10
	v_and_b32_e32 v1, 0xffff, v1
	s_add_i32 s9, s9, s0
	s_mulk_i32 s8, 0xf724
	v_mul_f64 v[10:11], v[10:11], s[4:5]
	v_lshl_or_b32 v1, v3, 16, v1
	v_mov_b32_e32 v12, s9
	v_add_co_u32_e32 v3, vcc, s8, v4
	v_addc_co_u32_e32 v4, vcc, v5, v12, vcc
	global_store_dword v[3:4], v1, off
	v_and_or_b32 v1, v11, s6, v10
	v_cmp_ne_u32_e32 vcc, 0, v1
	v_cndmask_b32_e64 v1, 0, 1, vcc
	v_lshrrev_b32_e32 v5, 8, v11
	v_bfe_u32 v10, v11, 20, 11
	v_and_or_b32 v1, v5, s7, v1
	v_sub_u32_e32 v12, 0x3f1, v10
	v_or_b32_e32 v5, 0x1000, v1
	v_med3_i32 v12, v12, 0, 13
	v_lshrrev_b32_e32 v13, v12, v5
	v_mul_f16_sdwa v6, v84, v6 dst_sel:DWORD dst_unused:UNUSED_PAD src0_sel:WORD_1 src1_sel:DWORD
	v_lshlrev_b32_e32 v12, v12, v13
	v_fma_f16 v6, v84, v8, -v6
	v_cmp_ne_u32_e32 vcc, v12, v5
	v_cvt_f32_f16_e32 v6, v6
	v_cndmask_b32_e64 v5, 0, 1, vcc
	v_add_u32_e32 v10, 0xfffffc10, v10
	v_or_b32_e32 v5, v13, v5
	v_lshl_or_b32 v12, v10, 12, v1
	v_cmp_gt_i32_e32 vcc, 1, v10
	v_cndmask_b32_e32 v5, v12, v5, vcc
	v_and_b32_e32 v12, 7, v5
	v_lshrrev_b32_e32 v8, 2, v5
	v_cvt_f64_f32_e32 v[5:6], v6
	v_cmp_lt_i32_e32 vcc, 5, v12
	v_cmp_eq_u32_e64 s[0:1], 3, v12
	s_or_b64 vcc, s[0:1], vcc
	v_mul_f64 v[5:6], v[5:6], s[4:5]
	v_addc_co_u32_e32 v8, vcc, 0, v8, vcc
	v_cmp_gt_i32_e32 vcc, 31, v10
	v_cndmask_b32_e32 v8, v2, v8, vcc
	v_cmp_ne_u32_e32 vcc, 0, v1
	v_cndmask_b32_e64 v1, 0, 1, vcc
	v_lshl_or_b32 v1, v1, 9, v2
	v_cmp_eq_u32_e32 vcc, s10, v10
	v_and_or_b32 v5, v6, s6, v5
	v_cndmask_b32_e32 v1, v8, v1, vcc
	v_lshrrev_b32_e32 v8, 16, v11
	v_cmp_ne_u32_e32 vcc, 0, v5
	v_and_or_b32 v1, v8, s11, v1
	v_cndmask_b32_e64 v5, 0, 1, vcc
	v_lshrrev_b32_e32 v8, 8, v6
	v_bfe_u32 v10, v6, 20, 11
	v_and_or_b32 v5, v8, s7, v5
	v_sub_u32_e32 v11, 0x3f1, v10
	v_or_b32_e32 v8, 0x1000, v5
	v_med3_i32 v11, v11, 0, 13
	v_lshrrev_b32_e32 v12, v11, v8
	v_lshlrev_b32_e32 v11, v11, v12
	v_cmp_ne_u32_e32 vcc, v11, v8
	v_cndmask_b32_e64 v8, 0, 1, vcc
	v_add_u32_e32 v10, 0xfffffc10, v10
	v_or_b32_e32 v8, v12, v8
	v_lshl_or_b32 v11, v10, 12, v5
	v_cmp_gt_i32_e32 vcc, 1, v10
	v_cndmask_b32_e32 v8, v11, v8, vcc
	v_and_b32_e32 v11, 7, v8
	v_lshrrev_b32_e32 v12, 16, v9
	v_cmp_lt_i32_e32 vcc, 5, v11
	v_cmp_eq_u32_e64 s[0:1], 3, v11
	v_mul_f16_sdwa v11, v83, v12 dst_sel:DWORD dst_unused:UNUSED_PAD src0_sel:WORD_1 src1_sel:DWORD
	v_fma_f16 v11, v83, v9, v11
	v_lshrrev_b32_e32 v8, 2, v8
	s_or_b64 vcc, s[0:1], vcc
	v_cvt_f32_f16_e32 v11, v11
	v_addc_co_u32_e32 v8, vcc, 0, v8, vcc
	v_cmp_gt_i32_e32 vcc, 31, v10
	v_cndmask_b32_e32 v8, v2, v8, vcc
	v_cmp_ne_u32_e32 vcc, 0, v5
	v_cndmask_b32_e64 v5, 0, 1, vcc
	v_cmp_eq_u32_e32 vcc, s10, v10
	v_cvt_f64_f32_e32 v[10:11], v11
	v_lshl_or_b32 v5, v5, 9, v2
	v_cndmask_b32_e32 v5, v8, v5, vcc
	v_lshrrev_b32_e32 v6, 16, v6
	v_and_or_b32 v8, v6, s11, v5
	v_mul_f64 v[5:6], v[10:11], s[4:5]
	v_and_b32_e32 v1, 0xffff, v1
	v_lshl_or_b32 v1, v8, 16, v1
	v_mov_b32_e32 v8, s2
	v_add_co_u32_e32 v3, vcc, s3, v3
	v_addc_co_u32_e32 v4, vcc, v4, v8, vcc
	global_store_dword v[3:4], v1, off
	v_and_or_b32 v1, v6, s6, v5
	v_cmp_ne_u32_e32 vcc, 0, v1
	v_cndmask_b32_e64 v1, 0, 1, vcc
	v_lshrrev_b32_e32 v5, 8, v6
	v_bfe_u32 v8, v6, 20, 11
	v_and_or_b32 v1, v5, s7, v1
	v_sub_u32_e32 v10, 0x3f1, v8
	v_or_b32_e32 v5, 0x1000, v1
	v_med3_i32 v10, v10, 0, 13
	v_lshrrev_b32_e32 v11, v10, v5
	v_lshlrev_b32_e32 v10, v10, v11
	v_mul_f16_sdwa v9, v83, v9 dst_sel:DWORD dst_unused:UNUSED_PAD src0_sel:WORD_1 src1_sel:DWORD
	v_cmp_ne_u32_e32 vcc, v10, v5
	v_fma_f16 v9, v83, v12, -v9
	v_cndmask_b32_e64 v5, 0, 1, vcc
	v_add_u32_e32 v10, 0xfffffc10, v8
	v_cvt_f32_f16_e32 v9, v9
	v_or_b32_e32 v5, v11, v5
	v_lshl_or_b32 v8, v10, 12, v1
	v_cmp_gt_i32_e32 vcc, 1, v10
	v_cndmask_b32_e32 v5, v8, v5, vcc
	v_and_b32_e32 v8, 7, v5
	v_cmp_lt_i32_e32 vcc, 5, v8
	v_cmp_eq_u32_e64 s[0:1], 3, v8
	v_cvt_f64_f32_e32 v[8:9], v9
	v_lshrrev_b32_e32 v5, 2, v5
	s_or_b64 vcc, s[0:1], vcc
	v_addc_co_u32_e32 v5, vcc, 0, v5, vcc
	v_mul_f64 v[8:9], v[8:9], s[4:5]
	v_cmp_gt_i32_e32 vcc, 31, v10
	v_cndmask_b32_e32 v5, v2, v5, vcc
	v_cmp_ne_u32_e32 vcc, 0, v1
	v_cndmask_b32_e64 v1, 0, 1, vcc
	v_lshl_or_b32 v1, v1, 9, v2
	v_cmp_eq_u32_e32 vcc, s10, v10
	v_cndmask_b32_e32 v1, v5, v1, vcc
	v_lshrrev_b32_e32 v5, 16, v6
	v_and_or_b32 v1, v5, s11, v1
	v_and_or_b32 v5, v9, s6, v8
	v_cmp_ne_u32_e32 vcc, 0, v5
	v_cndmask_b32_e64 v5, 0, 1, vcc
	v_lshrrev_b32_e32 v6, 8, v9
	v_and_or_b32 v8, v6, s7, v5
	v_bfe_u32 v6, v9, 20, 11
	v_sub_u32_e32 v10, 0x3f1, v6
	v_or_b32_e32 v5, 0x1000, v8
	v_med3_i32 v10, v10, 0, 13
	v_lshrrev_b32_e32 v11, v10, v5
	v_lshlrev_b32_e32 v10, v10, v11
	v_cmp_ne_u32_e32 vcc, v10, v5
	v_cndmask_b32_e64 v5, 0, 1, vcc
	v_add_u32_e32 v10, 0xfffffc10, v6
	v_or_b32_e32 v5, v11, v5
	v_lshl_or_b32 v6, v10, 12, v8
	v_cmp_gt_i32_e32 vcc, 1, v10
	v_cndmask_b32_e32 v5, v6, v5, vcc
	v_and_b32_e32 v6, 7, v5
	v_cmp_lt_i32_e32 vcc, 5, v6
	v_cmp_eq_u32_e64 s[0:1], 3, v6
	v_lshrrev_b32_e32 v5, 2, v5
	s_or_b64 vcc, s[0:1], vcc
	v_addc_co_u32_e32 v11, vcc, 0, v5, vcc
	ds_read2_b32 v[5:6], v73 offset0:126 offset1:189
	v_cmp_gt_i32_e32 vcc, 31, v10
	v_cndmask_b32_e32 v11, v2, v11, vcc
	v_cmp_ne_u32_e32 vcc, 0, v8
	v_cndmask_b32_e64 v8, 0, 1, vcc
	s_waitcnt lgkmcnt(0)
	v_lshrrev_b32_e32 v12, 16, v5
	v_mul_f16_sdwa v13, v82, v12 dst_sel:DWORD dst_unused:UNUSED_PAD src0_sel:WORD_1 src1_sel:DWORD
	v_fma_f16 v13, v82, v5, v13
	v_cvt_f32_f16_e32 v13, v13
	v_lshl_or_b32 v8, v8, 9, v2
	v_cmp_eq_u32_e32 vcc, s10, v10
	v_cndmask_b32_e32 v8, v11, v8, vcc
	v_cvt_f64_f32_e32 v[10:11], v13
	v_lshrrev_b32_e32 v9, 16, v9
	v_and_or_b32 v13, v9, s11, v8
	v_and_b32_e32 v1, 0xffff, v1
	v_mul_f64 v[8:9], v[10:11], s[4:5]
	v_mov_b32_e32 v10, s2
	v_add_co_u32_e32 v3, vcc, s3, v3
	v_lshl_or_b32 v1, v13, 16, v1
	v_addc_co_u32_e32 v4, vcc, v4, v10, vcc
	global_store_dword v[3:4], v1, off
	v_and_or_b32 v1, v9, s6, v8
	v_cmp_ne_u32_e32 vcc, 0, v1
	v_cndmask_b32_e64 v1, 0, 1, vcc
	v_lshrrev_b32_e32 v8, 8, v9
	v_bfe_u32 v10, v9, 20, 11
	v_and_or_b32 v1, v8, s7, v1
	v_sub_u32_e32 v11, 0x3f1, v10
	v_or_b32_e32 v8, 0x1000, v1
	v_med3_i32 v11, v11, 0, 13
	v_lshrrev_b32_e32 v13, v11, v8
	v_lshlrev_b32_e32 v11, v11, v13
	v_cmp_ne_u32_e32 vcc, v11, v8
	v_mul_f16_sdwa v5, v82, v5 dst_sel:DWORD dst_unused:UNUSED_PAD src0_sel:WORD_1 src1_sel:DWORD
	v_cndmask_b32_e64 v8, 0, 1, vcc
	v_fma_f16 v5, v82, v12, -v5
	v_or_b32_e32 v8, v13, v8
	v_add_u32_e32 v13, 0xfffffc10, v10
	v_cvt_f32_f16_e32 v5, v5
	v_lshl_or_b32 v10, v13, 12, v1
	v_cmp_gt_i32_e32 vcc, 1, v13
	v_cndmask_b32_e32 v8, v10, v8, vcc
	v_and_b32_e32 v10, 7, v8
	v_cmp_lt_i32_e32 vcc, 5, v10
	v_cmp_eq_u32_e64 s[0:1], 3, v10
	v_cvt_f64_f32_e32 v[10:11], v5
	v_lshrrev_b32_e32 v8, 2, v8
	s_or_b64 vcc, s[0:1], vcc
	v_addc_co_u32_e32 v5, vcc, 0, v8, vcc
	v_mul_f64 v[10:11], v[10:11], s[4:5]
	v_cmp_gt_i32_e32 vcc, 31, v13
	v_cndmask_b32_e32 v5, v2, v5, vcc
	v_cmp_ne_u32_e32 vcc, 0, v1
	v_cndmask_b32_e64 v1, 0, 1, vcc
	v_lshl_or_b32 v1, v1, 9, v2
	v_cmp_eq_u32_e32 vcc, s10, v13
	v_cndmask_b32_e32 v1, v5, v1, vcc
	v_lshrrev_b32_e32 v5, 16, v9
	v_and_or_b32 v1, v5, s11, v1
	v_and_or_b32 v5, v11, s6, v10
	v_cmp_ne_u32_e32 vcc, 0, v5
	v_cndmask_b32_e64 v5, 0, 1, vcc
	v_lshrrev_b32_e32 v8, 8, v11
	v_bfe_u32 v9, v11, 20, 11
	v_and_or_b32 v5, v8, s7, v5
	v_sub_u32_e32 v10, 0x3f1, v9
	v_or_b32_e32 v8, 0x1000, v5
	v_med3_i32 v10, v10, 0, 13
	v_lshrrev_b32_e32 v12, v10, v8
	v_lshlrev_b32_e32 v10, v10, v12
	v_cmp_ne_u32_e32 vcc, v10, v8
	v_cndmask_b32_e64 v8, 0, 1, vcc
	v_add_u32_e32 v9, 0xfffffc10, v9
	v_or_b32_e32 v8, v12, v8
	v_lshl_or_b32 v10, v9, 12, v5
	v_cmp_gt_i32_e32 vcc, 1, v9
	v_cndmask_b32_e32 v8, v10, v8, vcc
	v_and_b32_e32 v10, 7, v8
	v_cmp_lt_i32_e32 vcc, 5, v10
	v_cmp_eq_u32_e64 s[0:1], 3, v10
	v_lshrrev_b32_e32 v10, 16, v7
	v_lshrrev_b32_e32 v8, 2, v8
	s_or_b64 vcc, s[0:1], vcc
	v_mul_f16_sdwa v12, v80, v10 dst_sel:DWORD dst_unused:UNUSED_PAD src0_sel:WORD_1 src1_sel:DWORD
	v_addc_co_u32_e32 v8, vcc, 0, v8, vcc
	v_fma_f16 v12, v80, v7, v12
	v_cmp_gt_i32_e32 vcc, 31, v9
	v_cvt_f32_f16_e32 v12, v12
	v_cndmask_b32_e32 v8, v2, v8, vcc
	v_cmp_ne_u32_e32 vcc, 0, v5
	v_cndmask_b32_e64 v5, 0, 1, vcc
	v_lshl_or_b32 v5, v5, 9, v2
	v_cmp_eq_u32_e32 vcc, s10, v9
	v_cndmask_b32_e32 v5, v8, v5, vcc
	v_cvt_f64_f32_e32 v[8:9], v12
	v_lshrrev_b32_e32 v11, 16, v11
	v_and_or_b32 v5, v11, s11, v5
	v_and_b32_e32 v1, 0xffff, v1
	v_mul_f64 v[8:9], v[8:9], s[4:5]
	v_lshl_or_b32 v1, v5, 16, v1
	v_mov_b32_e32 v5, s9
	v_add_co_u32_e32 v3, vcc, s8, v3
	v_addc_co_u32_e32 v4, vcc, v4, v5, vcc
	global_store_dword v[3:4], v1, off
	v_and_or_b32 v1, v9, s6, v8
	v_cmp_ne_u32_e32 vcc, 0, v1
	v_cndmask_b32_e64 v1, 0, 1, vcc
	v_lshrrev_b32_e32 v5, 8, v9
	v_bfe_u32 v8, v9, 20, 11
	v_and_or_b32 v1, v5, s7, v1
	v_sub_u32_e32 v11, 0x3f1, v8
	v_or_b32_e32 v5, 0x1000, v1
	v_med3_i32 v11, v11, 0, 13
	v_lshrrev_b32_e32 v12, v11, v5
	v_lshlrev_b32_e32 v11, v11, v12
	v_mul_f16_sdwa v7, v80, v7 dst_sel:DWORD dst_unused:UNUSED_PAD src0_sel:WORD_1 src1_sel:DWORD
	v_cmp_ne_u32_e32 vcc, v11, v5
	v_fma_f16 v7, v80, v10, -v7
	v_cndmask_b32_e64 v5, 0, 1, vcc
	v_add_u32_e32 v11, 0xfffffc10, v8
	v_cvt_f32_f16_e32 v7, v7
	v_or_b32_e32 v5, v12, v5
	v_lshl_or_b32 v8, v11, 12, v1
	v_cmp_gt_i32_e32 vcc, 1, v11
	v_cndmask_b32_e32 v5, v8, v5, vcc
	v_and_b32_e32 v8, 7, v5
	v_cmp_lt_i32_e32 vcc, 5, v8
	v_cmp_eq_u32_e64 s[0:1], 3, v8
	v_cvt_f64_f32_e32 v[7:8], v7
	v_lshrrev_b32_e32 v5, 2, v5
	s_or_b64 vcc, s[0:1], vcc
	v_addc_co_u32_e32 v5, vcc, 0, v5, vcc
	v_mul_f64 v[7:8], v[7:8], s[4:5]
	v_cmp_gt_i32_e32 vcc, 31, v11
	v_cndmask_b32_e32 v5, v2, v5, vcc
	v_cmp_ne_u32_e32 vcc, 0, v1
	v_cndmask_b32_e64 v1, 0, 1, vcc
	v_lshl_or_b32 v1, v1, 9, v2
	v_cmp_eq_u32_e32 vcc, s10, v11
	v_cndmask_b32_e32 v1, v5, v1, vcc
	v_lshrrev_b32_e32 v5, 16, v9
	v_and_or_b32 v1, v5, s11, v1
	v_and_or_b32 v5, v8, s6, v7
	v_cmp_ne_u32_e32 vcc, 0, v5
	v_cndmask_b32_e64 v5, 0, 1, vcc
	v_lshrrev_b32_e32 v7, 8, v8
	v_bfe_u32 v9, v8, 20, 11
	v_and_or_b32 v5, v7, s7, v5
	v_sub_u32_e32 v10, 0x3f1, v9
	v_or_b32_e32 v7, 0x1000, v5
	v_med3_i32 v10, v10, 0, 13
	v_lshrrev_b32_e32 v11, v10, v7
	v_lshlrev_b32_e32 v10, v10, v11
	v_cmp_ne_u32_e32 vcc, v10, v7
	v_cndmask_b32_e64 v7, 0, 1, vcc
	v_or_b32_e32 v7, v11, v7
	v_add_u32_e32 v11, 0xfffffc10, v9
	v_lshl_or_b32 v9, v11, 12, v5
	v_cmp_gt_i32_e32 vcc, 1, v11
	v_cndmask_b32_e32 v7, v9, v7, vcc
	v_and_b32_e32 v9, 7, v7
	v_cmp_lt_i32_e32 vcc, 5, v9
	v_cmp_eq_u32_e64 s[0:1], 3, v9
	v_add_u32_e32 v9, 0xa00, v73
	ds_read2_b32 v[9:10], v9 offset0:116 offset1:179
	v_lshrrev_b32_e32 v7, 2, v7
	s_or_b64 vcc, s[0:1], vcc
	v_addc_co_u32_e32 v7, vcc, 0, v7, vcc
	s_waitcnt lgkmcnt(0)
	v_lshrrev_b32_e32 v13, 16, v9
	v_mul_f16_sdwa v12, v81, v13 dst_sel:DWORD dst_unused:UNUSED_PAD src0_sel:WORD_1 src1_sel:DWORD
	v_fma_f16 v12, v81, v9, v12
	v_cvt_f32_f16_e32 v12, v12
	v_cmp_gt_i32_e32 vcc, 31, v11
	v_cndmask_b32_e32 v7, v2, v7, vcc
	v_cmp_ne_u32_e32 vcc, 0, v5
	v_cndmask_b32_e64 v5, 0, 1, vcc
	v_cmp_eq_u32_e32 vcc, s10, v11
	v_cvt_f64_f32_e32 v[11:12], v12
	v_lshl_or_b32 v5, v5, 9, v2
	v_cndmask_b32_e32 v5, v7, v5, vcc
	v_lshrrev_b32_e32 v7, 16, v8
	v_and_or_b32 v5, v7, s11, v5
	v_mul_f64 v[7:8], v[11:12], s[4:5]
	v_and_b32_e32 v1, 0xffff, v1
	v_lshl_or_b32 v1, v5, 16, v1
	v_mov_b32_e32 v5, s2
	v_add_co_u32_e32 v3, vcc, s3, v3
	v_addc_co_u32_e32 v4, vcc, v4, v5, vcc
	global_store_dword v[3:4], v1, off
	v_and_or_b32 v1, v8, s6, v7
	v_cmp_ne_u32_e32 vcc, 0, v1
	v_cndmask_b32_e64 v1, 0, 1, vcc
	v_lshrrev_b32_e32 v5, 8, v8
	v_bfe_u32 v7, v8, 20, 11
	v_and_or_b32 v1, v5, s7, v1
	v_sub_u32_e32 v11, 0x3f1, v7
	v_or_b32_e32 v5, 0x1000, v1
	v_med3_i32 v11, v11, 0, 13
	v_lshrrev_b32_e32 v12, v11, v5
	v_lshlrev_b32_e32 v11, v11, v12
	v_mul_f16_sdwa v9, v81, v9 dst_sel:DWORD dst_unused:UNUSED_PAD src0_sel:WORD_1 src1_sel:DWORD
	v_cmp_ne_u32_e32 vcc, v11, v5
	v_fma_f16 v9, v81, v13, -v9
	v_cndmask_b32_e64 v5, 0, 1, vcc
	v_add_u32_e32 v7, 0xfffffc10, v7
	v_cvt_f32_f16_e32 v9, v9
	v_or_b32_e32 v5, v12, v5
	v_lshl_or_b32 v11, v7, 12, v1
	v_cmp_gt_i32_e32 vcc, 1, v7
	v_cndmask_b32_e32 v5, v11, v5, vcc
	v_and_b32_e32 v11, 7, v5
	v_cmp_lt_i32_e32 vcc, 5, v11
	v_cmp_eq_u32_e64 s[0:1], 3, v11
	v_cvt_f64_f32_e32 v[11:12], v9
	v_lshrrev_b32_e32 v5, 2, v5
	s_or_b64 vcc, s[0:1], vcc
	v_addc_co_u32_e32 v5, vcc, 0, v5, vcc
	v_mul_f64 v[11:12], v[11:12], s[4:5]
	v_cmp_gt_i32_e32 vcc, 31, v7
	v_cndmask_b32_e32 v5, v2, v5, vcc
	v_cmp_ne_u32_e32 vcc, 0, v1
	v_cndmask_b32_e64 v1, 0, 1, vcc
	v_lshl_or_b32 v1, v1, 9, v2
	v_cmp_eq_u32_e32 vcc, s10, v7
	v_cndmask_b32_e32 v1, v5, v1, vcc
	v_lshrrev_b32_e32 v5, 16, v8
	v_and_or_b32 v1, v5, s11, v1
	v_and_or_b32 v5, v12, s6, v11
	v_cmp_ne_u32_e32 vcc, 0, v5
	v_cndmask_b32_e64 v5, 0, 1, vcc
	v_lshrrev_b32_e32 v7, 8, v12
	v_bfe_u32 v8, v12, 20, 11
	v_and_or_b32 v5, v7, s7, v5
	v_sub_u32_e32 v9, 0x3f1, v8
	v_or_b32_e32 v7, 0x1000, v5
	v_med3_i32 v9, v9, 0, 13
	v_lshrrev_b32_e32 v11, v9, v7
	v_lshlrev_b32_e32 v9, v9, v11
	v_cmp_ne_u32_e32 vcc, v9, v7
	v_cndmask_b32_e64 v7, 0, 1, vcc
	v_add_u32_e32 v8, 0xfffffc10, v8
	v_or_b32_e32 v7, v11, v7
	v_lshl_or_b32 v9, v8, 12, v5
	v_cmp_gt_i32_e32 vcc, 1, v8
	v_cndmask_b32_e32 v7, v9, v7, vcc
	v_and_b32_e32 v9, 7, v7
	v_cmp_lt_i32_e32 vcc, 5, v9
	v_cmp_eq_u32_e64 s[0:1], 3, v9
	v_lshrrev_b32_e32 v9, 16, v6
	v_lshrrev_b32_e32 v7, 2, v7
	s_or_b64 vcc, s[0:1], vcc
	v_mul_f16_sdwa v11, v79, v9 dst_sel:DWORD dst_unused:UNUSED_PAD src0_sel:WORD_1 src1_sel:DWORD
	v_addc_co_u32_e32 v7, vcc, 0, v7, vcc
	v_fma_f16 v11, v79, v6, v11
	v_cmp_gt_i32_e32 vcc, 31, v8
	v_cvt_f32_f16_e32 v11, v11
	v_cndmask_b32_e32 v7, v2, v7, vcc
	v_cmp_ne_u32_e32 vcc, 0, v5
	v_cndmask_b32_e64 v5, 0, 1, vcc
	v_lshl_or_b32 v5, v5, 9, v2
	v_cmp_eq_u32_e32 vcc, s10, v8
	v_cndmask_b32_e32 v5, v7, v5, vcc
	v_cvt_f64_f32_e32 v[7:8], v11
	v_lshrrev_b32_e32 v11, 16, v12
	v_and_or_b32 v5, v11, s11, v5
	v_and_b32_e32 v1, 0xffff, v1
	v_mul_f64 v[7:8], v[7:8], s[4:5]
	v_lshl_or_b32 v1, v5, 16, v1
	v_mov_b32_e32 v5, s2
	v_add_co_u32_e32 v3, vcc, s3, v3
	v_addc_co_u32_e32 v4, vcc, v4, v5, vcc
	global_store_dword v[3:4], v1, off
	v_and_or_b32 v1, v8, s6, v7
	v_cmp_ne_u32_e32 vcc, 0, v1
	v_cndmask_b32_e64 v1, 0, 1, vcc
	v_lshrrev_b32_e32 v5, 8, v8
	v_bfe_u32 v7, v8, 20, 11
	v_and_or_b32 v1, v5, s7, v1
	v_sub_u32_e32 v11, 0x3f1, v7
	v_or_b32_e32 v5, 0x1000, v1
	v_med3_i32 v11, v11, 0, 13
	v_lshrrev_b32_e32 v12, v11, v5
	v_mul_f16_sdwa v6, v79, v6 dst_sel:DWORD dst_unused:UNUSED_PAD src0_sel:WORD_1 src1_sel:DWORD
	v_lshlrev_b32_e32 v11, v11, v12
	v_fma_f16 v6, v79, v9, -v6
	v_cmp_ne_u32_e32 vcc, v11, v5
	v_cvt_f32_f16_e32 v6, v6
	v_cndmask_b32_e64 v5, 0, 1, vcc
	v_add_u32_e32 v7, 0xfffffc10, v7
	v_or_b32_e32 v5, v12, v5
	v_lshl_or_b32 v11, v7, 12, v1
	v_cmp_gt_i32_e32 vcc, 1, v7
	v_cndmask_b32_e32 v5, v11, v5, vcc
	v_and_b32_e32 v11, 7, v5
	v_lshrrev_b32_e32 v9, 2, v5
	v_cvt_f64_f32_e32 v[5:6], v6
	v_cmp_lt_i32_e32 vcc, 5, v11
	v_cmp_eq_u32_e64 s[0:1], 3, v11
	s_or_b64 vcc, s[0:1], vcc
	v_mul_f64 v[5:6], v[5:6], s[4:5]
	v_addc_co_u32_e32 v9, vcc, 0, v9, vcc
	v_cmp_gt_i32_e32 vcc, 31, v7
	v_cndmask_b32_e32 v9, v2, v9, vcc
	v_cmp_ne_u32_e32 vcc, 0, v1
	v_cndmask_b32_e64 v1, 0, 1, vcc
	v_lshl_or_b32 v1, v1, 9, v2
	v_cmp_eq_u32_e32 vcc, s10, v7
	v_and_or_b32 v5, v6, s6, v5
	v_cndmask_b32_e32 v1, v9, v1, vcc
	v_lshrrev_b32_e32 v7, 16, v8
	v_cmp_ne_u32_e32 vcc, 0, v5
	v_and_or_b32 v1, v7, s11, v1
	v_cndmask_b32_e64 v5, 0, 1, vcc
	v_lshrrev_b32_e32 v7, 8, v6
	v_bfe_u32 v8, v6, 20, 11
	v_and_or_b32 v5, v7, s7, v5
	v_sub_u32_e32 v9, 0x3f1, v8
	v_or_b32_e32 v7, 0x1000, v5
	v_med3_i32 v9, v9, 0, 13
	v_lshrrev_b32_e32 v11, v9, v7
	v_lshlrev_b32_e32 v9, v9, v11
	v_cmp_ne_u32_e32 vcc, v9, v7
	v_cndmask_b32_e64 v7, 0, 1, vcc
	v_add_u32_e32 v9, 0xfffffc10, v8
	v_or_b32_e32 v7, v11, v7
	v_lshl_or_b32 v8, v9, 12, v5
	v_cmp_gt_i32_e32 vcc, 1, v9
	v_cndmask_b32_e32 v7, v8, v7, vcc
	v_and_b32_e32 v8, 7, v7
	v_cmp_lt_i32_e32 vcc, 5, v8
	v_cmp_eq_u32_e64 s[0:1], 3, v8
	v_lshrrev_b32_e32 v7, 2, v7
	s_or_b64 vcc, s[0:1], vcc
	v_addc_co_u32_e32 v11, vcc, 0, v7, vcc
	v_add_u32_e32 v7, 0x600, v73
	ds_read2_b32 v[7:8], v7 offset0:120 offset1:183
	v_cmp_gt_i32_e32 vcc, 31, v9
	v_cndmask_b32_e32 v11, v2, v11, vcc
	v_cmp_ne_u32_e32 vcc, 0, v5
	v_cndmask_b32_e64 v5, 0, 1, vcc
	s_waitcnt lgkmcnt(0)
	v_lshrrev_b32_e32 v13, 16, v7
	v_mul_f16_sdwa v12, v78, v13 dst_sel:DWORD dst_unused:UNUSED_PAD src0_sel:WORD_1 src1_sel:DWORD
	v_fma_f16 v12, v78, v7, v12
	v_cvt_f32_f16_e32 v12, v12
	v_lshl_or_b32 v5, v5, 9, v2
	v_cmp_eq_u32_e32 vcc, s10, v9
	v_cndmask_b32_e32 v5, v11, v5, vcc
	v_cvt_f64_f32_e32 v[11:12], v12
	v_lshrrev_b32_e32 v6, 16, v6
	v_and_or_b32 v9, v6, s11, v5
	v_and_b32_e32 v1, 0xffff, v1
	v_mul_f64 v[5:6], v[11:12], s[4:5]
	v_lshl_or_b32 v1, v9, 16, v1
	v_mov_b32_e32 v9, s9
	v_add_co_u32_e32 v3, vcc, s8, v3
	v_addc_co_u32_e32 v4, vcc, v4, v9, vcc
	global_store_dword v[3:4], v1, off
	v_and_or_b32 v1, v6, s6, v5
	v_cmp_ne_u32_e32 vcc, 0, v1
	v_cndmask_b32_e64 v1, 0, 1, vcc
	v_lshrrev_b32_e32 v5, 8, v6
	v_bfe_u32 v9, v6, 20, 11
	v_and_or_b32 v1, v5, s7, v1
	v_sub_u32_e32 v11, 0x3f1, v9
	v_or_b32_e32 v5, 0x1000, v1
	v_med3_i32 v11, v11, 0, 13
	v_lshrrev_b32_e32 v12, v11, v5
	v_lshlrev_b32_e32 v11, v11, v12
	v_mul_f16_sdwa v7, v78, v7 dst_sel:DWORD dst_unused:UNUSED_PAD src0_sel:WORD_1 src1_sel:DWORD
	v_cmp_ne_u32_e32 vcc, v11, v5
	v_fma_f16 v7, v78, v13, -v7
	v_cndmask_b32_e64 v5, 0, 1, vcc
	v_add_u32_e32 v9, 0xfffffc10, v9
	v_cvt_f32_f16_e32 v7, v7
	v_or_b32_e32 v5, v12, v5
	v_lshl_or_b32 v11, v9, 12, v1
	v_cmp_gt_i32_e32 vcc, 1, v9
	v_cndmask_b32_e32 v5, v11, v5, vcc
	v_and_b32_e32 v11, 7, v5
	v_cmp_lt_i32_e32 vcc, 5, v11
	v_cmp_eq_u32_e64 s[0:1], 3, v11
	v_cvt_f64_f32_e32 v[11:12], v7
	v_lshrrev_b32_e32 v5, 2, v5
	s_or_b64 vcc, s[0:1], vcc
	v_addc_co_u32_e32 v5, vcc, 0, v5, vcc
	v_mul_f64 v[11:12], v[11:12], s[4:5]
	v_cmp_gt_i32_e32 vcc, 31, v9
	v_cndmask_b32_e32 v5, v2, v5, vcc
	v_cmp_ne_u32_e32 vcc, 0, v1
	v_cndmask_b32_e64 v1, 0, 1, vcc
	v_lshl_or_b32 v1, v1, 9, v2
	v_cmp_eq_u32_e32 vcc, s10, v9
	v_cndmask_b32_e32 v1, v5, v1, vcc
	v_lshrrev_b32_e32 v5, 16, v6
	v_and_or_b32 v1, v5, s11, v1
	v_and_or_b32 v5, v12, s6, v11
	v_cmp_ne_u32_e32 vcc, 0, v5
	v_cndmask_b32_e64 v5, 0, 1, vcc
	v_lshrrev_b32_e32 v6, 8, v12
	v_bfe_u32 v7, v12, 20, 11
	v_and_or_b32 v5, v6, s7, v5
	v_sub_u32_e32 v9, 0x3f1, v7
	v_or_b32_e32 v6, 0x1000, v5
	v_med3_i32 v9, v9, 0, 13
	v_lshrrev_b32_e32 v11, v9, v6
	v_lshlrev_b32_e32 v9, v9, v11
	v_cmp_ne_u32_e32 vcc, v9, v6
	v_cndmask_b32_e64 v6, 0, 1, vcc
	v_add_u32_e32 v7, 0xfffffc10, v7
	v_or_b32_e32 v6, v11, v6
	v_lshl_or_b32 v9, v7, 12, v5
	v_cmp_gt_i32_e32 vcc, 1, v7
	v_cndmask_b32_e32 v6, v9, v6, vcc
	v_and_b32_e32 v9, 7, v6
	v_cmp_lt_i32_e32 vcc, 5, v9
	v_cmp_eq_u32_e64 s[0:1], 3, v9
	v_lshrrev_b32_e32 v9, 16, v10
	v_lshrrev_b32_e32 v6, 2, v6
	s_or_b64 vcc, s[0:1], vcc
	v_mul_f16_sdwa v11, v77, v9 dst_sel:DWORD dst_unused:UNUSED_PAD src0_sel:WORD_1 src1_sel:DWORD
	v_addc_co_u32_e32 v6, vcc, 0, v6, vcc
	v_fma_f16 v11, v77, v10, v11
	v_cmp_gt_i32_e32 vcc, 31, v7
	v_cvt_f32_f16_e32 v11, v11
	v_cndmask_b32_e32 v6, v2, v6, vcc
	v_cmp_ne_u32_e32 vcc, 0, v5
	v_cndmask_b32_e64 v5, 0, 1, vcc
	v_lshl_or_b32 v5, v5, 9, v2
	v_cmp_eq_u32_e32 vcc, s10, v7
	v_cndmask_b32_e32 v7, v6, v5, vcc
	v_cvt_f64_f32_e32 v[5:6], v11
	v_lshrrev_b32_e32 v11, 16, v12
	v_and_or_b32 v7, v11, s11, v7
	v_and_b32_e32 v1, 0xffff, v1
	v_mul_f64 v[5:6], v[5:6], s[4:5]
	v_lshl_or_b32 v1, v7, 16, v1
	v_mov_b32_e32 v7, s2
	v_add_co_u32_e32 v3, vcc, s3, v3
	v_addc_co_u32_e32 v4, vcc, v4, v7, vcc
	global_store_dword v[3:4], v1, off
	v_and_or_b32 v1, v6, s6, v5
	v_cmp_ne_u32_e32 vcc, 0, v1
	v_cndmask_b32_e64 v1, 0, 1, vcc
	v_lshrrev_b32_e32 v5, 8, v6
	v_bfe_u32 v7, v6, 20, 11
	v_mul_f16_sdwa v10, v77, v10 dst_sel:DWORD dst_unused:UNUSED_PAD src0_sel:WORD_1 src1_sel:DWORD
	v_and_or_b32 v1, v5, s7, v1
	v_sub_u32_e32 v11, 0x3f1, v7
	v_fma_f16 v9, v77, v9, -v10
	v_or_b32_e32 v5, 0x1000, v1
	v_med3_i32 v11, v11, 0, 13
	v_cvt_f32_f16_e32 v9, v9
	v_lshrrev_b32_e32 v12, v11, v5
	v_lshlrev_b32_e32 v11, v11, v12
	v_cmp_ne_u32_e32 vcc, v11, v5
	v_cndmask_b32_e64 v5, 0, 1, vcc
	v_add_u32_e32 v7, 0xfffffc10, v7
	v_cvt_f64_f32_e32 v[9:10], v9
	v_or_b32_e32 v5, v12, v5
	v_lshl_or_b32 v11, v7, 12, v1
	v_cmp_gt_i32_e32 vcc, 1, v7
	v_cndmask_b32_e32 v5, v11, v5, vcc
	v_and_b32_e32 v11, 7, v5
	v_cmp_lt_i32_e32 vcc, 5, v11
	v_cmp_eq_u32_e64 s[0:1], 3, v11
	v_mul_f64 v[9:10], v[9:10], s[4:5]
	v_lshrrev_b32_e32 v5, 2, v5
	s_or_b64 vcc, s[0:1], vcc
	v_addc_co_u32_e32 v5, vcc, 0, v5, vcc
	v_cmp_gt_i32_e32 vcc, 31, v7
	v_cndmask_b32_e32 v5, v2, v5, vcc
	v_cmp_ne_u32_e32 vcc, 0, v1
	v_cndmask_b32_e64 v1, 0, 1, vcc
	v_lshl_or_b32 v1, v1, 9, v2
	v_cmp_eq_u32_e32 vcc, s10, v7
	v_cndmask_b32_e32 v1, v5, v1, vcc
	v_lshrrev_b32_e32 v5, 16, v6
	v_and_or_b32 v1, v5, s11, v1
	v_and_or_b32 v5, v10, s6, v9
	v_cmp_ne_u32_e32 vcc, 0, v5
	v_cndmask_b32_e64 v5, 0, 1, vcc
	v_lshrrev_b32_e32 v6, 8, v10
	v_bfe_u32 v7, v10, 20, 11
	v_and_or_b32 v5, v6, s7, v5
	v_sub_u32_e32 v9, 0x3f1, v7
	v_or_b32_e32 v6, 0x1000, v5
	v_med3_i32 v9, v9, 0, 13
	v_lshrrev_b32_e32 v11, v9, v6
	v_lshlrev_b32_e32 v9, v9, v11
	v_cmp_ne_u32_e32 vcc, v9, v6
	v_cndmask_b32_e64 v6, 0, 1, vcc
	v_add_u32_e32 v7, 0xfffffc10, v7
	v_or_b32_e32 v6, v11, v6
	v_lshl_or_b32 v9, v7, 12, v5
	v_cmp_gt_i32_e32 vcc, 1, v7
	v_cndmask_b32_e32 v6, v9, v6, vcc
	v_and_b32_e32 v9, 7, v6
	v_cmp_lt_i32_e32 vcc, 5, v9
	v_cmp_eq_u32_e64 s[0:1], 3, v9
	v_lshrrev_b32_e32 v9, 16, v0
	v_lshrrev_b32_e32 v6, 2, v6
	s_or_b64 vcc, s[0:1], vcc
	v_mul_f16_sdwa v11, v76, v9 dst_sel:DWORD dst_unused:UNUSED_PAD src0_sel:WORD_1 src1_sel:DWORD
	v_addc_co_u32_e32 v6, vcc, 0, v6, vcc
	v_fma_f16 v11, v76, v0, v11
	v_cmp_gt_i32_e32 vcc, 31, v7
	v_cvt_f32_f16_e32 v11, v11
	v_cndmask_b32_e32 v6, v2, v6, vcc
	v_cmp_ne_u32_e32 vcc, 0, v5
	v_cndmask_b32_e64 v5, 0, 1, vcc
	v_lshl_or_b32 v5, v5, 9, v2
	v_cmp_eq_u32_e32 vcc, s10, v7
	v_cndmask_b32_e32 v7, v6, v5, vcc
	v_cvt_f64_f32_e32 v[5:6], v11
	v_lshrrev_b32_e32 v10, 16, v10
	v_and_or_b32 v7, v10, s11, v7
	v_and_b32_e32 v1, 0xffff, v1
	v_mul_f64 v[5:6], v[5:6], s[4:5]
	v_lshl_or_b32 v1, v7, 16, v1
	v_mov_b32_e32 v7, s2
	v_add_co_u32_e32 v3, vcc, s3, v3
	v_addc_co_u32_e32 v4, vcc, v4, v7, vcc
	global_store_dword v[3:4], v1, off
	v_and_or_b32 v1, v6, s6, v5
	v_cmp_ne_u32_e32 vcc, 0, v1
	v_cndmask_b32_e64 v1, 0, 1, vcc
	v_lshrrev_b32_e32 v5, 8, v6
	v_bfe_u32 v7, v6, 20, 11
	v_and_or_b32 v5, v5, s7, v1
	v_sub_u32_e32 v10, 0x3f1, v7
	v_or_b32_e32 v1, 0x1000, v5
	v_med3_i32 v10, v10, 0, 13
	v_lshrrev_b32_e32 v11, v10, v1
	v_mul_f16_sdwa v0, v76, v0 dst_sel:DWORD dst_unused:UNUSED_PAD src0_sel:WORD_1 src1_sel:DWORD
	v_lshlrev_b32_e32 v10, v10, v11
	v_fma_f16 v0, v76, v9, -v0
	v_cmp_ne_u32_e32 vcc, v10, v1
	v_cvt_f32_f16_e32 v0, v0
	v_cndmask_b32_e64 v1, 0, 1, vcc
	v_add_u32_e32 v7, 0xfffffc10, v7
	v_or_b32_e32 v1, v11, v1
	v_lshl_or_b32 v10, v7, 12, v5
	v_cmp_gt_i32_e32 vcc, 1, v7
	v_cndmask_b32_e32 v1, v10, v1, vcc
	v_and_b32_e32 v10, 7, v1
	v_lshrrev_b32_e32 v9, 2, v1
	v_cvt_f64_f32_e32 v[0:1], v0
	v_cmp_lt_i32_e32 vcc, 5, v10
	v_cmp_eq_u32_e64 s[0:1], 3, v10
	s_or_b64 vcc, s[0:1], vcc
	v_mul_f64 v[0:1], v[0:1], s[4:5]
	v_addc_co_u32_e32 v9, vcc, 0, v9, vcc
	v_cmp_gt_i32_e32 vcc, 31, v7
	v_cndmask_b32_e32 v9, v2, v9, vcc
	v_cmp_ne_u32_e32 vcc, 0, v5
	v_cndmask_b32_e64 v5, 0, 1, vcc
	v_lshl_or_b32 v5, v5, 9, v2
	v_cmp_eq_u32_e32 vcc, s10, v7
	v_and_or_b32 v0, v1, s6, v0
	v_cndmask_b32_e32 v5, v9, v5, vcc
	v_lshrrev_b32_e32 v6, 16, v6
	v_cmp_ne_u32_e32 vcc, 0, v0
	v_and_or_b32 v7, v6, s11, v5
	v_cndmask_b32_e64 v0, 0, 1, vcc
	v_lshrrev_b32_e32 v5, 8, v1
	v_bfe_u32 v6, v1, 20, 11
	v_and_or_b32 v0, v5, s7, v0
	v_sub_u32_e32 v9, 0x3f1, v6
	v_or_b32_e32 v5, 0x1000, v0
	v_med3_i32 v9, v9, 0, 13
	v_lshrrev_b32_e32 v10, v9, v5
	v_lshlrev_b32_e32 v9, v9, v10
	v_cmp_ne_u32_e32 vcc, v9, v5
	v_cndmask_b32_e64 v5, 0, 1, vcc
	v_add_u32_e32 v6, 0xfffffc10, v6
	v_or_b32_e32 v5, v10, v5
	v_lshl_or_b32 v9, v6, 12, v0
	v_cmp_gt_i32_e32 vcc, 1, v6
	v_cndmask_b32_e32 v5, v9, v5, vcc
	v_and_b32_e32 v9, 7, v5
	v_cmp_lt_i32_e32 vcc, 5, v9
	v_cmp_eq_u32_e64 s[0:1], 3, v9
	v_lshrrev_b32_e32 v9, 16, v8
	v_lshrrev_b32_e32 v5, 2, v5
	s_or_b64 vcc, s[0:1], vcc
	v_mul_f16_sdwa v10, v75, v9 dst_sel:DWORD dst_unused:UNUSED_PAD src0_sel:WORD_1 src1_sel:DWORD
	v_addc_co_u32_e32 v5, vcc, 0, v5, vcc
	v_fma_f16 v10, v75, v8, v10
	v_cmp_gt_i32_e32 vcc, 31, v6
	v_cvt_f32_f16_e32 v10, v10
	v_cndmask_b32_e32 v5, v2, v5, vcc
	v_cmp_ne_u32_e32 vcc, 0, v0
	v_cndmask_b32_e64 v0, 0, 1, vcc
	v_lshl_or_b32 v0, v0, 9, v2
	v_cmp_eq_u32_e32 vcc, s10, v6
	v_cndmask_b32_e32 v0, v5, v0, vcc
	v_cvt_f64_f32_e32 v[5:6], v10
	v_lshrrev_b32_e32 v1, 16, v1
	v_and_or_b32 v10, v1, s11, v0
	v_add_co_u32_e32 v3, vcc, s8, v3
	v_mul_f64 v[0:1], v[5:6], s[4:5]
	v_mov_b32_e32 v6, s9
	v_and_b32_e32 v7, 0xffff, v7
	v_addc_co_u32_e32 v4, vcc, v4, v6, vcc
	v_lshl_or_b32 v5, v10, 16, v7
	global_store_dword v[3:4], v5, off
	v_mul_f16_sdwa v8, v75, v8 dst_sel:DWORD dst_unused:UNUSED_PAD src0_sel:WORD_1 src1_sel:DWORD
	v_and_or_b32 v0, v1, s6, v0
	v_cmp_ne_u32_e32 vcc, 0, v0
	v_cndmask_b32_e64 v0, 0, 1, vcc
	v_lshrrev_b32_e32 v5, 8, v1
	v_bfe_u32 v6, v1, 20, 11
	v_and_or_b32 v0, v5, s7, v0
	v_sub_u32_e32 v7, 0x3f1, v6
	v_or_b32_e32 v5, 0x1000, v0
	v_med3_i32 v7, v7, 0, 13
	v_lshrrev_b32_e32 v10, v7, v5
	v_lshlrev_b32_e32 v7, v7, v10
	v_cmp_ne_u32_e32 vcc, v7, v5
	v_fma_f16 v8, v75, v9, -v8
	v_cndmask_b32_e64 v5, 0, 1, vcc
	v_add_u32_e32 v7, 0xfffffc10, v6
	v_cvt_f32_f16_e32 v8, v8
	v_or_b32_e32 v5, v10, v5
	v_lshl_or_b32 v6, v7, 12, v0
	v_cmp_gt_i32_e32 vcc, 1, v7
	v_cndmask_b32_e32 v5, v6, v5, vcc
	v_and_b32_e32 v6, 7, v5
	v_cmp_lt_i32_e32 vcc, 5, v6
	v_cmp_eq_u32_e64 s[0:1], 3, v6
	v_lshrrev_b32_e32 v9, 2, v5
	v_cvt_f64_f32_e32 v[5:6], v8
	s_or_b64 vcc, s[0:1], vcc
	v_addc_co_u32_e32 v8, vcc, 0, v9, vcc
	v_mul_f64 v[5:6], v[5:6], s[4:5]
	v_cmp_gt_i32_e32 vcc, 31, v7
	v_cndmask_b32_e32 v8, v2, v8, vcc
	v_cmp_ne_u32_e32 vcc, 0, v0
	v_cndmask_b32_e64 v0, 0, 1, vcc
	v_lshl_or_b32 v0, v0, 9, v2
	v_cmp_eq_u32_e32 vcc, s10, v7
	v_cndmask_b32_e32 v0, v8, v0, vcc
	v_lshrrev_b32_e32 v1, 16, v1
	v_and_or_b32 v7, v1, s11, v0
	v_and_or_b32 v0, v6, s6, v5
	v_cmp_ne_u32_e32 vcc, 0, v0
	v_cndmask_b32_e64 v0, 0, 1, vcc
	v_lshrrev_b32_e32 v1, 8, v6
	v_bfe_u32 v5, v6, 20, 11
	v_and_or_b32 v0, v1, s7, v0
	v_sub_u32_e32 v8, 0x3f1, v5
	v_or_b32_e32 v1, 0x1000, v0
	v_med3_i32 v8, v8, 0, 13
	v_lshrrev_b32_e32 v9, v8, v1
	v_lshlrev_b32_e32 v8, v8, v9
	v_cmp_ne_u32_e32 vcc, v8, v1
	v_cndmask_b32_e64 v1, 0, 1, vcc
	v_add_u32_e32 v5, 0xfffffc10, v5
	v_or_b32_e32 v1, v9, v1
	v_lshl_or_b32 v8, v5, 12, v0
	v_cmp_gt_i32_e32 vcc, 1, v5
	v_cndmask_b32_e32 v1, v8, v1, vcc
	v_and_b32_e32 v8, 7, v1
	v_cmp_lt_i32_e32 vcc, 5, v8
	v_cmp_eq_u32_e64 s[0:1], 3, v8
	ds_read_b32 v8, v73 offset:3528
	v_lshrrev_b32_e32 v1, 2, v1
	s_or_b64 vcc, s[0:1], vcc
	v_addc_co_u32_e32 v1, vcc, 0, v1, vcc
	s_waitcnt lgkmcnt(0)
	v_lshrrev_b32_e32 v9, 16, v8
	v_mul_f16_sdwa v10, v74, v9 dst_sel:DWORD dst_unused:UNUSED_PAD src0_sel:WORD_1 src1_sel:DWORD
	v_fma_f16 v10, v74, v8, v10
	v_cmp_gt_i32_e32 vcc, 31, v5
	v_cvt_f32_f16_e32 v10, v10
	v_cndmask_b32_e32 v1, v2, v1, vcc
	v_cmp_ne_u32_e32 vcc, 0, v0
	v_cndmask_b32_e64 v0, 0, 1, vcc
	v_lshl_or_b32 v0, v0, 9, v2
	v_cmp_eq_u32_e32 vcc, s10, v5
	v_cndmask_b32_e32 v5, v1, v0, vcc
	v_cvt_f64_f32_e32 v[0:1], v10
	v_lshrrev_b32_e32 v6, 16, v6
	v_and_or_b32 v5, v6, s11, v5
	v_and_b32_e32 v6, 0xffff, v7
	v_mul_f64 v[0:1], v[0:1], s[4:5]
	v_lshl_or_b32 v5, v5, 16, v6
	v_mov_b32_e32 v6, s2
	v_add_co_u32_e32 v3, vcc, s3, v3
	v_addc_co_u32_e32 v4, vcc, v4, v6, vcc
	global_store_dword v[3:4], v5, off
	v_and_or_b32 v0, v1, s6, v0
	v_cmp_ne_u32_e32 vcc, 0, v0
	v_cndmask_b32_e64 v0, 0, 1, vcc
	v_lshrrev_b32_e32 v5, 8, v1
	v_bfe_u32 v6, v1, 20, 11
	v_and_or_b32 v0, v5, s7, v0
	v_sub_u32_e32 v7, 0x3f1, v6
	v_or_b32_e32 v5, 0x1000, v0
	v_med3_i32 v7, v7, 0, 13
	v_lshrrev_b32_e32 v10, v7, v5
	v_lshlrev_b32_e32 v7, v7, v10
	v_mul_f16_sdwa v8, v74, v8 dst_sel:DWORD dst_unused:UNUSED_PAD src0_sel:WORD_1 src1_sel:DWORD
	v_cmp_ne_u32_e32 vcc, v7, v5
	v_fma_f16 v8, v74, v9, -v8
	v_cndmask_b32_e64 v5, 0, 1, vcc
	v_add_u32_e32 v7, 0xfffffc10, v6
	v_cvt_f32_f16_e32 v8, v8
	v_or_b32_e32 v5, v10, v5
	v_lshl_or_b32 v6, v7, 12, v0
	v_cmp_gt_i32_e32 vcc, 1, v7
	v_cndmask_b32_e32 v5, v6, v5, vcc
	v_and_b32_e32 v6, 7, v5
	v_cmp_lt_i32_e32 vcc, 5, v6
	v_cmp_eq_u32_e64 s[0:1], 3, v6
	v_lshrrev_b32_e32 v9, 2, v5
	v_cvt_f64_f32_e32 v[5:6], v8
	s_or_b64 vcc, s[0:1], vcc
	v_addc_co_u32_e32 v8, vcc, 0, v9, vcc
	v_mul_f64 v[5:6], v[5:6], s[4:5]
	v_cmp_gt_i32_e32 vcc, 31, v7
	v_cndmask_b32_e32 v8, v2, v8, vcc
	v_cmp_ne_u32_e32 vcc, 0, v0
	v_cndmask_b32_e64 v0, 0, 1, vcc
	v_lshl_or_b32 v0, v0, 9, v2
	v_cmp_eq_u32_e32 vcc, s10, v7
	v_cndmask_b32_e32 v0, v8, v0, vcc
	v_lshrrev_b32_e32 v1, 16, v1
	v_and_or_b32 v0, v1, s11, v0
	v_and_or_b32 v1, v6, s6, v5
	v_cmp_ne_u32_e32 vcc, 0, v1
	v_cndmask_b32_e64 v1, 0, 1, vcc
	v_lshrrev_b32_e32 v5, 8, v6
	v_bfe_u32 v7, v6, 20, 11
	v_and_or_b32 v1, v5, s7, v1
	v_sub_u32_e32 v8, 0x3f1, v7
	v_or_b32_e32 v5, 0x1000, v1
	v_med3_i32 v8, v8, 0, 13
	v_lshrrev_b32_e32 v9, v8, v5
	v_lshlrev_b32_e32 v8, v8, v9
	v_cmp_ne_u32_e32 vcc, v8, v5
	v_cndmask_b32_e64 v5, 0, 1, vcc
	v_add_u32_e32 v7, 0xfffffc10, v7
	v_or_b32_e32 v5, v9, v5
	v_lshl_or_b32 v8, v7, 12, v1
	v_cmp_gt_i32_e32 vcc, 1, v7
	v_cndmask_b32_e32 v5, v8, v5, vcc
	v_and_b32_e32 v8, 7, v5
	v_cmp_lt_i32_e32 vcc, 5, v8
	v_cmp_eq_u32_e64 s[0:1], 3, v8
	v_lshrrev_b32_e32 v5, 2, v5
	s_or_b64 vcc, s[0:1], vcc
	v_addc_co_u32_e32 v5, vcc, 0, v5, vcc
	v_cmp_gt_i32_e32 vcc, 31, v7
	v_cndmask_b32_e32 v5, v2, v5, vcc
	v_cmp_ne_u32_e32 vcc, 0, v1
	v_cndmask_b32_e64 v1, 0, 1, vcc
	v_lshl_or_b32 v1, v1, 9, v2
	v_cmp_eq_u32_e32 vcc, s10, v7
	v_cndmask_b32_e32 v1, v5, v1, vcc
	v_lshrrev_b32_e32 v2, 16, v6
	v_and_or_b32 v1, v2, s11, v1
	v_and_b32_e32 v0, 0xffff, v0
	v_lshl_or_b32 v2, v1, 16, v0
	v_mov_b32_e32 v1, s2
	v_add_co_u32_e32 v0, vcc, s3, v3
	v_addc_co_u32_e32 v1, vcc, v4, v1, vcc
	global_store_dword v[0:1], v2, off
.LBB0_10:
	s_endpgm
	.section	.rodata,"a",@progbits
	.p2align	6, 0x0
	.amdhsa_kernel bluestein_single_fwd_len945_dim1_half_op_CI_CI
		.amdhsa_group_segment_fixed_size 3780
		.amdhsa_private_segment_fixed_size 0
		.amdhsa_kernarg_size 104
		.amdhsa_user_sgpr_count 6
		.amdhsa_user_sgpr_private_segment_buffer 1
		.amdhsa_user_sgpr_dispatch_ptr 0
		.amdhsa_user_sgpr_queue_ptr 0
		.amdhsa_user_sgpr_kernarg_segment_ptr 1
		.amdhsa_user_sgpr_dispatch_id 0
		.amdhsa_user_sgpr_flat_scratch_init 0
		.amdhsa_user_sgpr_private_segment_size 0
		.amdhsa_uses_dynamic_stack 0
		.amdhsa_system_sgpr_private_segment_wavefront_offset 0
		.amdhsa_system_sgpr_workgroup_id_x 1
		.amdhsa_system_sgpr_workgroup_id_y 0
		.amdhsa_system_sgpr_workgroup_id_z 0
		.amdhsa_system_sgpr_workgroup_info 0
		.amdhsa_system_vgpr_workitem_id 0
		.amdhsa_next_free_vgpr 157
		.amdhsa_next_free_sgpr 20
		.amdhsa_reserve_vcc 1
		.amdhsa_reserve_flat_scratch 0
		.amdhsa_float_round_mode_32 0
		.amdhsa_float_round_mode_16_64 0
		.amdhsa_float_denorm_mode_32 3
		.amdhsa_float_denorm_mode_16_64 3
		.amdhsa_dx10_clamp 1
		.amdhsa_ieee_mode 1
		.amdhsa_fp16_overflow 0
		.amdhsa_exception_fp_ieee_invalid_op 0
		.amdhsa_exception_fp_denorm_src 0
		.amdhsa_exception_fp_ieee_div_zero 0
		.amdhsa_exception_fp_ieee_overflow 0
		.amdhsa_exception_fp_ieee_underflow 0
		.amdhsa_exception_fp_ieee_inexact 0
		.amdhsa_exception_int_div_zero 0
	.end_amdhsa_kernel
	.text
.Lfunc_end0:
	.size	bluestein_single_fwd_len945_dim1_half_op_CI_CI, .Lfunc_end0-bluestein_single_fwd_len945_dim1_half_op_CI_CI
                                        ; -- End function
	.section	.AMDGPU.csdata,"",@progbits
; Kernel info:
; codeLenInByte = 25052
; NumSgprs: 24
; NumVgprs: 157
; ScratchSize: 0
; MemoryBound: 0
; FloatMode: 240
; IeeeMode: 1
; LDSByteSize: 3780 bytes/workgroup (compile time only)
; SGPRBlocks: 2
; VGPRBlocks: 39
; NumSGPRsForWavesPerEU: 24
; NumVGPRsForWavesPerEU: 157
; Occupancy: 1
; WaveLimiterHint : 1
; COMPUTE_PGM_RSRC2:SCRATCH_EN: 0
; COMPUTE_PGM_RSRC2:USER_SGPR: 6
; COMPUTE_PGM_RSRC2:TRAP_HANDLER: 0
; COMPUTE_PGM_RSRC2:TGID_X_EN: 1
; COMPUTE_PGM_RSRC2:TGID_Y_EN: 0
; COMPUTE_PGM_RSRC2:TGID_Z_EN: 0
; COMPUTE_PGM_RSRC2:TIDIG_COMP_CNT: 0
	.type	__hip_cuid_2b9bffc4077b2b92,@object ; @__hip_cuid_2b9bffc4077b2b92
	.section	.bss,"aw",@nobits
	.globl	__hip_cuid_2b9bffc4077b2b92
__hip_cuid_2b9bffc4077b2b92:
	.byte	0                               ; 0x0
	.size	__hip_cuid_2b9bffc4077b2b92, 1

	.ident	"AMD clang version 19.0.0git (https://github.com/RadeonOpenCompute/llvm-project roc-6.4.0 25133 c7fe45cf4b819c5991fe208aaa96edf142730f1d)"
	.section	".note.GNU-stack","",@progbits
	.addrsig
	.addrsig_sym __hip_cuid_2b9bffc4077b2b92
	.amdgpu_metadata
---
amdhsa.kernels:
  - .args:
      - .actual_access:  read_only
        .address_space:  global
        .offset:         0
        .size:           8
        .value_kind:     global_buffer
      - .actual_access:  read_only
        .address_space:  global
        .offset:         8
        .size:           8
        .value_kind:     global_buffer
      - .actual_access:  read_only
        .address_space:  global
        .offset:         16
        .size:           8
        .value_kind:     global_buffer
      - .actual_access:  read_only
        .address_space:  global
        .offset:         24
        .size:           8
        .value_kind:     global_buffer
      - .actual_access:  read_only
        .address_space:  global
        .offset:         32
        .size:           8
        .value_kind:     global_buffer
      - .offset:         40
        .size:           8
        .value_kind:     by_value
      - .address_space:  global
        .offset:         48
        .size:           8
        .value_kind:     global_buffer
      - .address_space:  global
        .offset:         56
        .size:           8
        .value_kind:     global_buffer
      - .address_space:  global
        .offset:         64
        .size:           8
        .value_kind:     global_buffer
      - .address_space:  global
        .offset:         72
        .size:           8
        .value_kind:     global_buffer
      - .offset:         80
        .size:           4
        .value_kind:     by_value
      - .address_space:  global
        .offset:         88
        .size:           8
        .value_kind:     global_buffer
      - .address_space:  global
        .offset:         96
        .size:           8
        .value_kind:     global_buffer
    .group_segment_fixed_size: 3780
    .kernarg_segment_align: 8
    .kernarg_segment_size: 104
    .language:       OpenCL C
    .language_version:
      - 2
      - 0
    .max_flat_workgroup_size: 63
    .name:           bluestein_single_fwd_len945_dim1_half_op_CI_CI
    .private_segment_fixed_size: 0
    .sgpr_count:     24
    .sgpr_spill_count: 0
    .symbol:         bluestein_single_fwd_len945_dim1_half_op_CI_CI.kd
    .uniform_work_group_size: 1
    .uses_dynamic_stack: false
    .vgpr_count:     157
    .vgpr_spill_count: 0
    .wavefront_size: 64
amdhsa.target:   amdgcn-amd-amdhsa--gfx906
amdhsa.version:
  - 1
  - 2
...

	.end_amdgpu_metadata
